;; amdgpu-corpus repo=ROCm/aiter kind=harvested arch=n/a opt=n/a

/root/src/amdgpu-assembly/repos/ROCm__aiter/hsa/gfx942/fmoe_2stages/fmoe_stage1_bf16_pertokenFp8_blockscale_g1u1_144x128_pf3.co:	file format elf64-amdgpu

Disassembly of section .text:

0000000000002a00 <_ZN5aiter56fmoe_stage1_bf16_pertokenFp8_blockscale_g1u1_144x128_pf3E>:
	s_and_b32 s1, s1, 0xffff                                   // 000000002A00: 8601FF01 0000FFFF
	s_load_dwordx2 s[8:9], s[0:1], 0x0                         // 000000002A08: C0060200 00000000
	s_load_dwordx2 s[20:21], s[0:1], 0x10                      // 000000002A10: C0060500 00000010
	s_load_dwordx2 s[24:25], s[0:1], 0x20                      // 000000002A18: C0060600 00000020
	s_load_dwordx2 s[48:49], s[0:1], 0x30                      // 000000002A20: C0060C00 00000030
	s_load_dwordx2 s[28:29], s[0:1], 0x40                      // 000000002A28: C0060700 00000040
	s_load_dwordx2 s[32:33], s[0:1], 0x50                      // 000000002A30: C0060800 00000050
	s_load_dwordx2 s[36:37], s[0:1], 0x60                      // 000000002A38: C0060900 00000060
	s_load_dwordx2 s[12:13], s[0:1], 0x70                      // 000000002A40: C0060300 00000070
	s_load_dwordx2 s[44:45], s[0:1], 0x80                      // 000000002A48: C0060B00 00000080
	s_mov_b32 s89, 0                                           // 000000002A50: BED90080
	s_load_dword s64, s[0:1], 0x90                             // 000000002A54: C0021000 00000090
	s_load_dword s65, s[0:1], 0xa0                             // 000000002A5C: C0021040 000000A0
	s_load_dword s66, s[0:1], 0xb0                             // 000000002A64: C0021080 000000B0
	s_load_dword s67, s[0:1], 0xc0                             // 000000002A6C: C00210C0 000000C0
	s_load_dword s68, s[0:1], 0xd0                             // 000000002A74: C0021100 000000D0
	s_load_dword s69, s[0:1], 0xe0                             // 000000002A7C: C0021140 000000E0
	s_load_dword s71, s[0:1], 0xf0                             // 000000002A84: C00211C0 000000F0
	s_load_dword s72, s[0:1], 0x100                            // 000000002A8C: C0021200 00000100
	s_load_dword s74, s[0:1], 0x110                            // 000000002A94: C0021280 00000110
	s_load_dword s76, s[0:1], 0x120                            // 000000002A9C: C0021300 00000120
	s_load_dword s56, s[0:1], 0x130                            // 000000002AA4: C0020E00 00000130
	s_load_dword s88, s[0:1], 0x140                            // 000000002AAC: C0021600 00000140
	s_load_dword s89, s[0:1], 0x150                            // 000000002AB4: C0021640 00000150
	v_lshrrev_b32_e32 v1, 10, v0                               // 000000002ABC: 2002008A
	v_lshrrev_b32_e32 v2, 10, v1                               // 000000002AC0: 2004028A
	v_and_b32_e32 v2, 0x3ff, v2                                // 000000002AC4: 260404FF 000003FF
	v_and_b32_e32 v1, 0x3ff, v1                                // 000000002ACC: 260202FF 000003FF
	v_and_b32_e32 v0, 0x3ff, v0                                // 000000002AD4: 260000FF 000003FF
	v_lshrrev_b32_e32 v3, 6, v0                                // 000000002ADC: 20060086
	v_and_b32_e32 v0, 63, v0                                   // 000000002AE0: 260000BF
	s_mov_b32 s2, s2                                           // 000000002AE4: BE820002
	s_mov_b32 s3, s3                                           // 000000002AE8: BE830003
	s_mov_b32 s4, s4                                           // 000000002AEC: BE840004
	v_readfirstlane_b32 s7, v3                                 // 000000002AF0: 7E0E0503
	s_waitcnt lgkmcnt(0)                                       // 000000002AF4: BF8CC07F
	s_and_b32 s49, s49, 0xffff                                 // 000000002AF8: 8631FF31 0000FFFF
	s_load_dword s48, s[48:49], 0x0                            // 000000002B00: C0020C18 00000000
	s_and_b32 s45, s45, 0xffff                                 // 000000002B08: 862DFF2D 0000FFFF
	s_and_b32 s9, s9, 0xffff                                   // 000000002B10: 8609FF09 0000FFFF
	s_mul_i32 s60, s66, s68                                    // 000000002B18: 923C4442
	s_mul_i32 s61, s66, 4                                      // 000000002B1C: 923D8442
	s_mov_b32 s22, s60                                         // 000000002B20: BE96003C
	s_mov_b32 s26, -16                                         // 000000002B24: BE9A00D0
	s_mov_b32 s30, s61                                         // 000000002B28: BE9E003D
	s_mov_b32 s14, 0x240                                       // 000000002B2C: BE8E00FF 00000240
	s_mov_b32 s38, -16                                         // 000000002B34: BEA600D0
	s_mov_b32 s10, -16                                         // 000000002B38: BE8A00D0
	s_lshr_b32 s60, s64, 7                                     // 000000002B3C: 8F3C8740
	s_mul_i32 s61, s60, 4                                      // 000000002B40: 923D843C
	s_lshr_b32 s60, s65, 7                                     // 000000002B44: 8F3C8741
	s_add_u32 s60, s60, 1                                      // 000000002B48: 803C813C
	s_mul_i32 s60, s60, s61                                    // 000000002B4C: 923C3D3C
	s_mov_b32 s34, s60                                         // 000000002B50: BEA2003C
	s_mov_b32 s23, 0x20000                                     // 000000002B54: BE9700FF 00020000
	s_mov_b32 s27, 0x20000                                     // 000000002B5C: BE9B00FF 00020000
	s_mov_b32 s31, 0x20000                                     // 000000002B64: BE9F00FF 00020000
	s_mov_b32 s35, 0x20000                                     // 000000002B6C: BEA300FF 00020000
	s_mov_b32 s15, 0x20000                                     // 000000002B74: BE8F00FF 00020000
	s_mov_b32 s39, 0x20000                                     // 000000002B7C: BEA700FF 00020000
	s_mov_b32 s11, 0x20000                                     // 000000002B84: BE8B00FF 00020000
	s_and_b32 s21, s21, 0xffff                                 // 000000002B8C: 8615FF15 0000FFFF
	s_and_b32 s25, s25, 0xffff                                 // 000000002B94: 8619FF19 0000FFFF
	s_and_b32 s29, s29, 0xffff                                 // 000000002B9C: 861DFF1D 0000FFFF
	s_and_b32 s33, s33, 0xffff                                 // 000000002BA4: 8621FF21 0000FFFF
	s_and_b32 s13, s13, 0xffff                                 // 000000002BAC: 860DFF0D 0000FFFF
	s_and_b32 s37, s37, 0xffff                                 // 000000002BB4: 8625FF25 0000FFFF
	s_or_b32 s21, s21, 0x40000                                 // 000000002BBC: 8715FF15 00040000
	s_or_b32 s25, s25, 0x40000                                 // 000000002BC4: 8719FF19 00040000
	s_or_b32 s29, s29, 0x40000                                 // 000000002BCC: 871DFF1D 00040000
	s_or_b32 s33, s33, 0x40000                                 // 000000002BD4: 8721FF21 00040000
	s_or_b32 s13, s13, 0x40000                                 // 000000002BDC: 870DFF0D 00040000
	s_or_b32 s37, s37, 0x40000                                 // 000000002BE4: 8725FF25 00040000
	v_accvgpr_write_b32 a191, 0                                // 000000002BEC: D3D940BF 18000080
	v_mov_b32_e32 v231, 0                                      // 000000002BF4: 7FCE0280
	s_waitcnt lgkmcnt(0)                                       // 000000002BF8: BF8CC07F
	s_mul_i32 s60, s3, 0x90                                    // 000000002BFC: 923CFF03 00000090
	s_cmp_lt_i32 s60, s48                                      // 000000002C04: BF04303C
	s_cbranch_scc0 label_5300                                  // 000000002C08: BF84527A
	s_mov_b32 s80, 0                                           // 000000002C0C: BED00080
	s_lshr_b32 s81, s64, s88                                   // 000000002C10: 8F515840
	s_mul_i32 s60, s3, 4                                       // 000000002C14: 923C8403
	s_add_u32 s44, s60, s44                                    // 000000002C18: 802C2C3C
	s_addc_u32 s45, 0, s45                                     // 000000002C1C: 822D2D80
	s_load_dword s5, s[44:45], 0x0                             // 000000002C20: C0020156 00000000
	s_mul_i32 s60, s3, 0x90                                    // 000000002C28: 923CFF03 00000090
	s_mul_i32 s60, 4, s60                                      // 000000002C30: 923C3C84
	s_add_u32 s12, s60, s12                                    // 000000002C34: 800C0C3C
	s_addc_u32 s13, 0, s13                                     // 000000002C38: 820D0D80
	v_and_b32_e32 v4, 15, v0                                   // 000000002C3C: 2608008F
	v_lshlrev_b32_e32 v4, 2, v4                                // 000000002C40: 24080882
	buffer_load_dword v30, v4, s[12:15], 0 offen               // 000000002C44: E0501000 80031E04
	v_add_u32_e32 v4, 64, v4                                   // 000000002C4C: 680808C0
	buffer_load_dword v31, v4, s[12:15], 0 offen               // 000000002C50: E0501000 80031F04
	v_add_u32_e32 v4, 64, v4                                   // 000000002C58: 680808C0
	buffer_load_dword v32, v4, s[12:15], 0 offen               // 000000002C5C: E0501000 80032004
	v_add_u32_e32 v4, 64, v4                                   // 000000002C64: 680808C0
	buffer_load_dword v33, v4, s[12:15], 0 offen               // 000000002C68: E0501000 80032104
	v_add_u32_e32 v4, 64, v4                                   // 000000002C70: 680808C0
	buffer_load_dword v34, v4, s[12:15], 0 offen               // 000000002C74: E0501000 80032204
	v_add_u32_e32 v4, 64, v4                                   // 000000002C7C: 680808C0
	buffer_load_dword v35, v4, s[12:15], 0 offen               // 000000002C80: E0501000 80032304
	v_add_u32_e32 v4, 64, v4                                   // 000000002C88: 680808C0
	buffer_load_dword v36, v4, s[12:15], 0 offen               // 000000002C8C: E0501000 80032404
	v_add_u32_e32 v4, 64, v4                                   // 000000002C94: 680808C0
	buffer_load_dword v37, v4, s[12:15], 0 offen               // 000000002C98: E0501000 80032504
	v_add_u32_e32 v4, 64, v4                                   // 000000002CA0: 680808C0
	buffer_load_dword v38, v4, s[12:15], 0 offen               // 000000002CA4: E0501000 80032604
	v_add_u32_e32 v4, 64, v4                                   // 000000002CAC: 680808C0
	s_mul_i32 s60, 4, s7                                       // 000000002CB0: 923C0784
	v_lshlrev_b32_e32 v4, 4, v0                                // 000000002CB4: 24080084
	v_add_u32_e32 v4, s60, v4                                  // 000000002CB8: 6808083C
	buffer_load_dword v3, v4, s[12:15], 0 offen                // 000000002CBC: E0501000 80030304
	v_mov_b32_e32 v88, 0                                       // 000000002CC4: 7EB00280
	v_mov_b32_e32 v160, 0                                      // 000000002CC8: 7F400280
	v_mov_b32_e32 v89, 0                                       // 000000002CCC: 7EB20280
	v_mov_b32_e32 v161, 0                                      // 000000002CD0: 7F420280
	v_mov_b32_e32 v90, 0                                       // 000000002CD4: 7EB40280
	v_mov_b32_e32 v162, 0                                      // 000000002CD8: 7F440280
	v_mov_b32_e32 v91, 0                                       // 000000002CDC: 7EB60280
	v_mov_b32_e32 v163, 0                                      // 000000002CE0: 7F460280
	v_mov_b32_e32 v92, 0                                       // 000000002CE4: 7EB80280
	v_mov_b32_e32 v164, 0                                      // 000000002CE8: 7F480280
	v_mov_b32_e32 v93, 0                                       // 000000002CEC: 7EBA0280
	v_mov_b32_e32 v165, 0                                      // 000000002CF0: 7F4A0280
	v_mov_b32_e32 v94, 0                                       // 000000002CF4: 7EBC0280
	v_mov_b32_e32 v166, 0                                      // 000000002CF8: 7F4C0280
	v_mov_b32_e32 v95, 0                                       // 000000002CFC: 7EBE0280
	v_mov_b32_e32 v167, 0                                      // 000000002D00: 7F4E0280
	v_mov_b32_e32 v96, 0                                       // 000000002D04: 7EC00280
	v_mov_b32_e32 v168, 0                                      // 000000002D08: 7F500280
	v_mov_b32_e32 v97, 0                                       // 000000002D0C: 7EC20280
	v_mov_b32_e32 v169, 0                                      // 000000002D10: 7F520280
	v_mov_b32_e32 v98, 0                                       // 000000002D14: 7EC40280
	v_mov_b32_e32 v170, 0                                      // 000000002D18: 7F540280
	v_mov_b32_e32 v99, 0                                       // 000000002D1C: 7EC60280
	v_mov_b32_e32 v171, 0                                      // 000000002D20: 7F560280
	v_mov_b32_e32 v100, 0                                      // 000000002D24: 7EC80280
	v_mov_b32_e32 v172, 0                                      // 000000002D28: 7F580280
	v_mov_b32_e32 v101, 0                                      // 000000002D2C: 7ECA0280
	v_mov_b32_e32 v173, 0                                      // 000000002D30: 7F5A0280
	v_mov_b32_e32 v102, 0                                      // 000000002D34: 7ECC0280
	v_mov_b32_e32 v174, 0                                      // 000000002D38: 7F5C0280
	v_mov_b32_e32 v103, 0                                      // 000000002D3C: 7ECE0280
	v_mov_b32_e32 v175, 0                                      // 000000002D40: 7F5E0280
	v_mov_b32_e32 v104, 0                                      // 000000002D44: 7ED00280
	v_mov_b32_e32 v176, 0                                      // 000000002D48: 7F600280
	v_mov_b32_e32 v105, 0                                      // 000000002D4C: 7ED20280
	v_mov_b32_e32 v177, 0                                      // 000000002D50: 7F620280
	v_mov_b32_e32 v106, 0                                      // 000000002D54: 7ED40280
	v_mov_b32_e32 v178, 0                                      // 000000002D58: 7F640280
	v_mov_b32_e32 v107, 0                                      // 000000002D5C: 7ED60280
	v_mov_b32_e32 v179, 0                                      // 000000002D60: 7F660280
	v_mov_b32_e32 v108, 0                                      // 000000002D64: 7ED80280
	v_mov_b32_e32 v180, 0                                      // 000000002D68: 7F680280
	v_mov_b32_e32 v109, 0                                      // 000000002D6C: 7EDA0280
	v_mov_b32_e32 v181, 0                                      // 000000002D70: 7F6A0280
	v_mov_b32_e32 v110, 0                                      // 000000002D74: 7EDC0280
	v_mov_b32_e32 v182, 0                                      // 000000002D78: 7F6C0280
	v_mov_b32_e32 v111, 0                                      // 000000002D7C: 7EDE0280
	v_mov_b32_e32 v183, 0                                      // 000000002D80: 7F6E0280
	v_mov_b32_e32 v112, 0                                      // 000000002D84: 7EE00280
	v_mov_b32_e32 v184, 0                                      // 000000002D88: 7F700280
	v_mov_b32_e32 v113, 0                                      // 000000002D8C: 7EE20280
	v_mov_b32_e32 v185, 0                                      // 000000002D90: 7F720280
	v_mov_b32_e32 v114, 0                                      // 000000002D94: 7EE40280
	v_mov_b32_e32 v186, 0                                      // 000000002D98: 7F740280
	v_mov_b32_e32 v115, 0                                      // 000000002D9C: 7EE60280
	v_mov_b32_e32 v187, 0                                      // 000000002DA0: 7F760280
	v_mov_b32_e32 v116, 0                                      // 000000002DA4: 7EE80280
	v_mov_b32_e32 v188, 0                                      // 000000002DA8: 7F780280
	v_mov_b32_e32 v117, 0                                      // 000000002DAC: 7EEA0280
	v_mov_b32_e32 v189, 0                                      // 000000002DB0: 7F7A0280
	v_mov_b32_e32 v118, 0                                      // 000000002DB4: 7EEC0280
	v_mov_b32_e32 v190, 0                                      // 000000002DB8: 7F7C0280
	v_mov_b32_e32 v119, 0                                      // 000000002DBC: 7EEE0280
	v_mov_b32_e32 v191, 0                                      // 000000002DC0: 7F7E0280
	v_mov_b32_e32 v120, 0                                      // 000000002DC4: 7EF00280
	v_mov_b32_e32 v192, 0                                      // 000000002DC8: 7F800280
	v_mov_b32_e32 v121, 0                                      // 000000002DCC: 7EF20280
	v_mov_b32_e32 v193, 0                                      // 000000002DD0: 7F820280
	v_mov_b32_e32 v122, 0                                      // 000000002DD4: 7EF40280
	v_mov_b32_e32 v194, 0                                      // 000000002DD8: 7F840280
	v_mov_b32_e32 v123, 0                                      // 000000002DDC: 7EF60280
	v_mov_b32_e32 v195, 0                                      // 000000002DE0: 7F860280
	v_mov_b32_e32 v124, 0                                      // 000000002DE4: 7EF80280
	v_mov_b32_e32 v196, 0                                      // 000000002DE8: 7F880280
	v_mov_b32_e32 v125, 0                                      // 000000002DEC: 7EFA0280
	v_mov_b32_e32 v197, 0                                      // 000000002DF0: 7F8A0280
	v_mov_b32_e32 v126, 0                                      // 000000002DF4: 7EFC0280
	v_mov_b32_e32 v198, 0                                      // 000000002DF8: 7F8C0280
	v_mov_b32_e32 v127, 0                                      // 000000002DFC: 7EFE0280
	v_mov_b32_e32 v199, 0                                      // 000000002E00: 7F8E0280
	v_mov_b32_e32 v128, 0                                      // 000000002E04: 7F000280
	v_mov_b32_e32 v200, 0                                      // 000000002E08: 7F900280
	v_mov_b32_e32 v129, 0                                      // 000000002E0C: 7F020280
	v_mov_b32_e32 v201, 0                                      // 000000002E10: 7F920280
	v_mov_b32_e32 v130, 0                                      // 000000002E14: 7F040280
	v_mov_b32_e32 v202, 0                                      // 000000002E18: 7F940280
	v_mov_b32_e32 v131, 0                                      // 000000002E1C: 7F060280
	v_mov_b32_e32 v203, 0                                      // 000000002E20: 7F960280
	v_mov_b32_e32 v132, 0                                      // 000000002E24: 7F080280
	v_mov_b32_e32 v204, 0                                      // 000000002E28: 7F980280
	v_mov_b32_e32 v133, 0                                      // 000000002E2C: 7F0A0280
	v_mov_b32_e32 v205, 0                                      // 000000002E30: 7F9A0280
	v_mov_b32_e32 v134, 0                                      // 000000002E34: 7F0C0280
	v_mov_b32_e32 v206, 0                                      // 000000002E38: 7F9C0280
	v_mov_b32_e32 v135, 0                                      // 000000002E3C: 7F0E0280
	v_mov_b32_e32 v207, 0                                      // 000000002E40: 7F9E0280
	v_mov_b32_e32 v136, 0                                      // 000000002E44: 7F100280
	v_mov_b32_e32 v208, 0                                      // 000000002E48: 7FA00280
	v_mov_b32_e32 v137, 0                                      // 000000002E4C: 7F120280
	v_mov_b32_e32 v209, 0                                      // 000000002E50: 7FA20280
	v_mov_b32_e32 v138, 0                                      // 000000002E54: 7F140280
	v_mov_b32_e32 v210, 0                                      // 000000002E58: 7FA40280
	v_mov_b32_e32 v139, 0                                      // 000000002E5C: 7F160280
	v_mov_b32_e32 v211, 0                                      // 000000002E60: 7FA60280
	v_mov_b32_e32 v140, 0                                      // 000000002E64: 7F180280
	v_mov_b32_e32 v212, 0                                      // 000000002E68: 7FA80280
	v_mov_b32_e32 v141, 0                                      // 000000002E6C: 7F1A0280
	v_mov_b32_e32 v213, 0                                      // 000000002E70: 7FAA0280
	v_mov_b32_e32 v142, 0                                      // 000000002E74: 7F1C0280
	v_mov_b32_e32 v214, 0                                      // 000000002E78: 7FAC0280
	v_mov_b32_e32 v143, 0                                      // 000000002E7C: 7F1E0280
	v_mov_b32_e32 v215, 0                                      // 000000002E80: 7FAE0280
	v_mov_b32_e32 v144, 0                                      // 000000002E84: 7F200280
	v_mov_b32_e32 v216, 0                                      // 000000002E88: 7FB00280
	v_mov_b32_e32 v145, 0                                      // 000000002E8C: 7F220280
	v_mov_b32_e32 v217, 0                                      // 000000002E90: 7FB20280
	v_mov_b32_e32 v146, 0                                      // 000000002E94: 7F240280
	v_mov_b32_e32 v218, 0                                      // 000000002E98: 7FB40280
	v_mov_b32_e32 v147, 0                                      // 000000002E9C: 7F260280
	v_mov_b32_e32 v219, 0                                      // 000000002EA0: 7FB60280
	v_mov_b32_e32 v148, 0                                      // 000000002EA4: 7F280280
	v_mov_b32_e32 v220, 0                                      // 000000002EA8: 7FB80280
	v_mov_b32_e32 v149, 0                                      // 000000002EAC: 7F2A0280
	v_mov_b32_e32 v221, 0                                      // 000000002EB0: 7FBA0280
	v_mov_b32_e32 v150, 0                                      // 000000002EB4: 7F2C0280
	v_mov_b32_e32 v222, 0                                      // 000000002EB8: 7FBC0280
	v_mov_b32_e32 v151, 0                                      // 000000002EBC: 7F2E0280
	v_mov_b32_e32 v223, 0                                      // 000000002EC0: 7FBE0280
	v_mov_b32_e32 v152, 0                                      // 000000002EC4: 7F300280
	v_mov_b32_e32 v224, 0                                      // 000000002EC8: 7FC00280
	v_mov_b32_e32 v153, 0                                      // 000000002ECC: 7F320280
	v_mov_b32_e32 v225, 0                                      // 000000002ED0: 7FC20280
	v_mov_b32_e32 v154, 0                                      // 000000002ED4: 7F340280
	v_mov_b32_e32 v226, 0                                      // 000000002ED8: 7FC40280
	v_mov_b32_e32 v155, 0                                      // 000000002EDC: 7F360280
	v_mov_b32_e32 v227, 0                                      // 000000002EE0: 7FC60280
	v_mov_b32_e32 v156, 0                                      // 000000002EE4: 7F380280
	v_mov_b32_e32 v228, 0                                      // 000000002EE8: 7FC80280
	v_mov_b32_e32 v157, 0                                      // 000000002EEC: 7F3A0280
	v_mov_b32_e32 v229, 0                                      // 000000002EF0: 7FCA0280
	v_mov_b32_e32 v158, 0                                      // 000000002EF4: 7F3C0280
	v_mov_b32_e32 v230, 0                                      // 000000002EF8: 7FCC0280
	v_mov_b32_e32 v159, 0                                      // 000000002EFC: 7F3E0280
	v_mov_b32_e32 v231, 0                                      // 000000002F00: 7FCE0280
	s_mul_i32 s60, s2, 0x80                                    // 000000002F04: 923CFF02 00000080
	s_cmp_eq_u32 s88, 0                                        // 000000002F0C: BF068058
	s_cselect_b32 s61, 1, 4                                    // 000000002F10: 853D8481
	s_mul_i32 s60, s60, s61                                    // 000000002F14: 923C3D3C
	s_mov_b32 s90, s8                                          // 000000002F18: BEDA0008
	s_mov_b32 s91, s9                                          // 000000002F1C: BEDB0009
	s_add_u32 s8, s60, s8                                      // 000000002F20: 8008083C
	s_addc_u32 s9, 0, s9                                       // 000000002F24: 82090980
	v_lshrrev_b32_e32 v4, 4, v0                                // 000000002F28: 20080084
	v_mul_lo_u32 v20, 34, v4                                   // 000000002F2C: D2850014 000208A2
	v_and_b32_e32 v4, 15, v0                                   // 000000002F34: 2608008F
	v_mul_lo_u32 v5, 2, v4                                     // 000000002F38: D2850005 00020882
	v_add_u32_e32 v20, v5, v20                                 // 000000002F40: 68282905
	s_mul_i32 s60, s7, 0x88                                    // 000000002F44: 923CFF07 00000088
	v_add_u32_e32 v20, s60, v20                                // 000000002F4C: 6828283C
	v_lshlrev_b32_e32 v20, 2, v20                              // 000000002F50: 24282882
	v_and_b32_e32 v4, 31, v0                                   // 000000002F54: 2608009F
	v_lshrrev_b32_e32 v4, 1, v4                                // 000000002F58: 20080881
	v_mul_lo_u32 v21, 34, v4                                   // 000000002F5C: D2850015 000208A2
	v_lshrrev_b32_e32 v4, 5, v0                                // 000000002F64: 20080085
	v_mul_lo_u32 v4, 8, v4                                     // 000000002F68: D2850004 00020888
	v_add_u32_e32 v21, v21, v4                                 // 000000002F70: 682A0915
	v_and_b32_e32 v5, 1, v0                                    // 000000002F74: 260A0081
	v_add_u32_e32 v21, v5, v21                                 // 000000002F78: 682A2B05
	s_mul_i32 s60, s7, 2                                       // 000000002F7C: 923C8207
	v_add_u32_e32 v21, s60, v21                                // 000000002F80: 682A2A3C
	v_lshlrev_b32_e32 v21, 2, v21                              // 000000002F84: 242A2A82
	s_mul_i32 s60, s7, 0x1220                                  // 000000002F88: 923CFF07 00001220
	s_add_u32 s48, 0, s60                                      // 000000002F90: 80303C80
	s_add_u32 s49, 0x4880, s48                                 // 000000002F94: 803130FF 00004880
	s_add_u32 s50, 0x4880, s49                                 // 000000002F9C: 803231FF 00004880
	v_lshrrev_b32_e32 v4, 4, v0                                // 000000002FA4: 20080084
	v_lshlrev_b32_e32 v5, 2, v4                                // 000000002FA8: 240A0882
	v_and_b32_e32 v4, 15, v0                                   // 000000002FAC: 2608008F
	v_lshrrev_b32_e32 v6, 2, v4                                // 000000002FB0: 200C0882
	v_lshlrev_b32_e32 v6, 5, v6                                // 000000002FB4: 240C0C85
	v_add_u32_e32 v5, v6, v5                                   // 000000002FB8: 680A0B06
	v_and_b32_e32 v4, 3, v0                                    // 000000002FBC: 26080083
	v_mul_u32_u24_e32 v6, 0x488, v4                            // 000000002FC0: 100C08FF 00000488
	v_add_u32_e32 v5, v6, v5                                   // 000000002FC8: 680A0B06
	v_lshlrev_b32_e32 v2, 2, v5                                // 000000002FCC: 24040A82
	s_waitcnt lgkmcnt(0)                                       // 000000002FD0: BF8CC07F
	s_mul_i32 s60, s2, 0x80                                    // 000000002FD4: 923CFF02 00000080
	s_mul_i32 s60, s60, s69                                    // 000000002FDC: 923C453C
	s_mul_i32 s61, s5, s72                                     // 000000002FE0: 923D4805
	s_add_u32 s60, s61, s60                                    // 000000002FE4: 803C3C3D
	s_add_u32 s24, s60, s24                                    // 000000002FE8: 8018183C
	s_addc_u32 s25, 0, s25                                     // 000000002FEC: 82191980
	s_lshr_b32 s60, s64, s88                                   // 000000002FF0: 8F3C5840
	s_mul_i32 s60, s4, s60                                     // 000000002FF4: 923C3C04
	s_lshr_b32 s60, s60, 7                                     // 000000002FF8: 8F3C873C
	s_mul_i32 s60, s60, 0x800                                  // 000000002FFC: 923CFF3C 00000800
	s_add_u32 s24, s60, s24                                    // 000000003004: 8018183C
	s_addc_u32 s25, 0, s25                                     // 000000003008: 82191980
	s_lshr_b32 s60, s69, s88                                   // 00000000300C: 8F3C5845
	s_mul_i32 s60, s4, s60                                     // 000000003010: 923C3C04
	s_add_u32 s20, s60, s20                                    // 000000003014: 8014143C
	s_addc_u32 s21, 0, s21                                     // 000000003018: 82151580
	s_mul_i32 s60, s7, 16                                      // 00000000301C: 923C9007
	s_mul_i32 s60, s60, s69                                    // 000000003020: 923C453C
	v_lshlrev_b32_e32 v84, 4, v0                               // 000000003024: 24A80084
	v_add_u32_e32 v84, s60, v84                                // 000000003028: 68A8A83C
	s_mul_i32 s60, 64, s69                                     // 00000000302C: 923C45C0
	v_add_u32_e32 v85, s60, v84                                // 000000003030: 68AAA83C
	s_mov_b32 s84, s24                                         // 000000003034: BED40018
	s_mov_b32 s85, s25                                         // 000000003038: BED50019
	s_mov_b32 s86, s26                                         // 00000000303C: BED6001A
	s_mov_b32 s87, s27                                         // 000000003040: BED7001B
	s_mul_i32 s60, s69, s65                                    // 000000003044: 923C4145
	s_add_u32 s84, s60, s84                                    // 000000003048: 8054543C
	s_addc_u32 s85, 0, s85                                     // 00000000304C: 82555580
	s_lshr_b32 s60, s64, 7                                     // 000000003050: 8F3C8740
	s_mul_i32 s61, s60, 4                                      // 000000003054: 923D843C
	v_and_b32_e32 v22, 15, v0                                  // 000000003058: 262C008F
	v_mul_lo_u32 v22, v22, s61                                 // 00000000305C: D2850016 00007B16
	s_lshr_b32 s60, s65, 7                                     // 000000003064: 8F3C8741
	s_mul_i32 s60, s60, s61                                    // 000000003068: 923C3D3C
	v_add_u32_e64 v23, v22, s60                                // 00000000306C: D1340017 00007916
	s_mul_i32 s60, s2, 1                                       // 000000003074: 923C8102
	s_mul_i32 s60, s60, s61                                    // 000000003078: 923C3D3C
	s_mul_i32 s61, s5, s74                                     // 00000000307C: 923D4A05
	s_add_u32 s61, s61, s60                                    // 000000003080: 803D3C3D
	s_add_u32 s32, s61, s32                                    // 000000003084: 8020203D
	s_addc_u32 s33, 0, s33                                     // 000000003088: 82212180
	s_lshr_b32 s60, s64, 7                                     // 00000000308C: 8F3C8740
	s_lshr_b32 s60, s60, s88                                   // 000000003090: 8F3C583C
	s_mul_i32 s60, s4, s60                                     // 000000003094: 923C3C04
	s_mul_i32 s61, s60, 4                                      // 000000003098: 923D843C
	s_add_u32 s32, s61, s32                                    // 00000000309C: 8020203D
	s_addc_u32 s33, 0, s33                                     // 0000000030A0: 82212180
	s_lshl_b32 s62, s66, 2                                     // 0000000030A4: 8E3E8242
	s_mul_i32 s62, s60, s62                                    // 0000000030A8: 923E3E3C
	s_add_u32 s28, s62, s28                                    // 0000000030AC: 801C1C3E
	s_addc_u32 s29, 0, s29                                     // 0000000030B0: 821D1D80
	s_mov_b32 s4, 4                                            // 0000000030B4: BE840084
	s_mov_b32 s57, 0x80                                        // 0000000030B8: BEB900FF 00000080
	s_mov_b32 s58, 0x800                                       // 0000000030C0: BEBA00FF 00000800
	s_mov_b32 s83, s58                                         // 0000000030C8: BED3003A
	s_mov_b32 s52, 0x7060302                                   // 0000000030CC: BEB400FF 07060302
	s_mov_b32 s53, 0x400                                       // 0000000030D4: BEB500FF 00000400
	s_mov_b32 s54, 0x40100                                     // 0000000030DC: BEB600FF 00040100
	s_mov_b32 s55, 0x4020100                                   // 0000000030E4: BEB700FF 04020100
	s_mov_b32 s6, 0x3fb8aa3b                                   // 0000000030EC: BE8600FF 3FB8AA3B
	s_mov_b32 s78, 0xbd92220c                                  // 0000000030F4: BECE00FF BD92220C
	s_mov_b32 s79, 0xbd92220c                                  // 0000000030FC: BECF00FF BD92220C
	s_mov_b32 m0, s48                                          // 000000003104: BEFC0030
	v_mov_b32_e32 v1, 0xbfcc4231                               // 000000003108: 7E0202FF BFCC4231
	v_mov_b32_e32 v17, 0xffff0000                              // 000000003110: 7E2202FF FFFF0000
	v_mov_b32_e32 v18, 0x7fff0000                              // 000000003118: 7E2402FF 7FFF0000
	v_mov_b32_e32 v19, 0x7fff                                  // 000000003120: 7E2602FF 00007FFF
	s_waitcnt vmcnt(0) expcnt(0) lgkmcnt(0)                    // 000000003128: BF8C0000
	v_lshrrev_b32_e32 v4, 5, v0                                // 00000000312C: 20080085
	v_xor_b32_e32 v5, 1, v4                                    // 000000003130: 2A0A0881
	v_readlane_b32 s82, v3, 0                                  // 000000003134: D2890052 00010103
	s_and_b32 s82, s82, 0xffffff                               // 00000000313C: 8652FF52 00FFFFFF
	v_mul_lo_u32 v6, v5, s82                                   // 000000003144: D2850006 0000A505
	v_readlane_b32 s82, v3, 1                                  // 00000000314C: D2890052 00010303
	s_and_b32 s82, s82, 0xffffff                               // 000000003154: 8652FF52 00FFFFFF
	v_mul_lo_u32 v7, v4, s82                                   // 00000000315C: D2850007 0000A504
	v_add_u32_e32 v66, v6, v7                                  // 000000003164: 68840F06
	v_mul_lo_u32 v66, v66, s68                                 // 000000003168: D2850042 00008942
	v_readlane_b32 s82, v3, 2                                  // 000000003170: D2890052 00010503
	s_and_b32 s82, s82, 0xffffff                               // 000000003178: 8652FF52 00FFFFFF
	v_mul_lo_u32 v6, v5, s82                                   // 000000003180: D2850006 0000A505
	v_readlane_b32 s82, v3, 3                                  // 000000003188: D2890052 00010703
	s_and_b32 s82, s82, 0xffffff                               // 000000003190: 8652FF52 00FFFFFF
	v_mul_lo_u32 v7, v4, s82                                   // 000000003198: D2850007 0000A504
	v_add_u32_e32 v67, v6, v7                                  // 0000000031A0: 68860F06
	v_mul_lo_u32 v67, v67, s68                                 // 0000000031A4: D2850043 00008943
	v_readlane_b32 s82, v3, 4                                  // 0000000031AC: D2890052 00010903
	s_and_b32 s82, s82, 0xffffff                               // 0000000031B4: 8652FF52 00FFFFFF
	v_mul_lo_u32 v6, v5, s82                                   // 0000000031BC: D2850006 0000A505
	v_readlane_b32 s82, v3, 5                                  // 0000000031C4: D2890052 00010B03
	s_and_b32 s82, s82, 0xffffff                               // 0000000031CC: 8652FF52 00FFFFFF
	v_mul_lo_u32 v7, v4, s82                                   // 0000000031D4: D2850007 0000A504
	v_add_u32_e32 v68, v6, v7                                  // 0000000031DC: 68880F06
	v_mul_lo_u32 v68, v68, s68                                 // 0000000031E0: D2850044 00008944
	v_readlane_b32 s82, v3, 6                                  // 0000000031E8: D2890052 00010D03
	s_and_b32 s82, s82, 0xffffff                               // 0000000031F0: 8652FF52 00FFFFFF
	v_mul_lo_u32 v6, v5, s82                                   // 0000000031F8: D2850006 0000A505
	v_readlane_b32 s82, v3, 7                                  // 000000003200: D2890052 00010F03
	s_and_b32 s82, s82, 0xffffff                               // 000000003208: 8652FF52 00FFFFFF
	v_mul_lo_u32 v7, v4, s82                                   // 000000003210: D2850007 0000A504
	v_add_u32_e32 v69, v6, v7                                  // 000000003218: 688A0F06
	v_mul_lo_u32 v69, v69, s68                                 // 00000000321C: D2850045 00008945
	v_readlane_b32 s82, v3, 8                                  // 000000003224: D2890052 00011103
	s_and_b32 s82, s82, 0xffffff                               // 00000000322C: 8652FF52 00FFFFFF
	v_mul_lo_u32 v6, v5, s82                                   // 000000003234: D2850006 0000A505
	v_readlane_b32 s82, v3, 9                                  // 00000000323C: D2890052 00011303
	s_and_b32 s82, s82, 0xffffff                               // 000000003244: 8652FF52 00FFFFFF
	v_mul_lo_u32 v7, v4, s82                                   // 00000000324C: D2850007 0000A504
	v_add_u32_e32 v70, v6, v7                                  // 000000003254: 688C0F06
	v_mul_lo_u32 v70, v70, s68                                 // 000000003258: D2850046 00008946
	v_readlane_b32 s82, v3, 10                                 // 000000003260: D2890052 00011503
	s_and_b32 s82, s82, 0xffffff                               // 000000003268: 8652FF52 00FFFFFF
	v_mul_lo_u32 v6, v5, s82                                   // 000000003270: D2850006 0000A505
	v_readlane_b32 s82, v3, 11                                 // 000000003278: D2890052 00011703
	s_and_b32 s82, s82, 0xffffff                               // 000000003280: 8652FF52 00FFFFFF
	v_mul_lo_u32 v7, v4, s82                                   // 000000003288: D2850007 0000A504
	v_add_u32_e32 v71, v6, v7                                  // 000000003290: 688E0F06
	v_mul_lo_u32 v71, v71, s68                                 // 000000003294: D2850047 00008947
	v_readlane_b32 s82, v3, 12                                 // 00000000329C: D2890052 00011903
	s_and_b32 s82, s82, 0xffffff                               // 0000000032A4: 8652FF52 00FFFFFF
	v_mul_lo_u32 v6, v5, s82                                   // 0000000032AC: D2850006 0000A505
	v_readlane_b32 s82, v3, 13                                 // 0000000032B4: D2890052 00011B03
	s_and_b32 s82, s82, 0xffffff                               // 0000000032BC: 8652FF52 00FFFFFF
	v_mul_lo_u32 v7, v4, s82                                   // 0000000032C4: D2850007 0000A504
	v_add_u32_e32 v72, v6, v7                                  // 0000000032CC: 68900F06
	v_mul_lo_u32 v72, v72, s68                                 // 0000000032D0: D2850048 00008948
	v_readlane_b32 s82, v3, 14                                 // 0000000032D8: D2890052 00011D03
	s_and_b32 s82, s82, 0xffffff                               // 0000000032E0: 8652FF52 00FFFFFF
	v_mul_lo_u32 v6, v5, s82                                   // 0000000032E8: D2850006 0000A505
	v_readlane_b32 s82, v3, 15                                 // 0000000032F0: D2890052 00011F03
	s_and_b32 s82, s82, 0xffffff                               // 0000000032F8: 8652FF52 00FFFFFF
	v_mul_lo_u32 v7, v4, s82                                   // 000000003300: D2850007 0000A504
	v_add_u32_e32 v73, v6, v7                                  // 000000003308: 68920F06
	v_mul_lo_u32 v73, v73, s68                                 // 00000000330C: D2850049 00008949
	v_readlane_b32 s82, v3, 16                                 // 000000003314: D2890052 00012103
	s_and_b32 s82, s82, 0xffffff                               // 00000000331C: 8652FF52 00FFFFFF
	v_mul_lo_u32 v6, v5, s82                                   // 000000003324: D2850006 0000A505
	v_readlane_b32 s82, v3, 17                                 // 00000000332C: D2890052 00012303
	s_and_b32 s82, s82, 0xffffff                               // 000000003334: 8652FF52 00FFFFFF
	v_mul_lo_u32 v7, v4, s82                                   // 00000000333C: D2850007 0000A504
	v_add_u32_e32 v74, v6, v7                                  // 000000003344: 68940F06
	v_mul_lo_u32 v74, v74, s68                                 // 000000003348: D285004A 0000894A
	v_readlane_b32 s82, v3, 18                                 // 000000003350: D2890052 00012503
	s_and_b32 s82, s82, 0xffffff                               // 000000003358: 8652FF52 00FFFFFF
	v_mul_lo_u32 v6, v5, s82                                   // 000000003360: D2850006 0000A505
	v_readlane_b32 s82, v3, 19                                 // 000000003368: D2890052 00012703
	s_and_b32 s82, s82, 0xffffff                               // 000000003370: 8652FF52 00FFFFFF
	v_mul_lo_u32 v7, v4, s82                                   // 000000003378: D2850007 0000A504
	v_add_u32_e32 v75, v6, v7                                  // 000000003380: 68960F06
	v_mul_lo_u32 v75, v75, s68                                 // 000000003384: D285004B 0000894B
	v_readlane_b32 s82, v3, 20                                 // 00000000338C: D2890052 00012903
	s_and_b32 s82, s82, 0xffffff                               // 000000003394: 8652FF52 00FFFFFF
	v_mul_lo_u32 v6, v5, s82                                   // 00000000339C: D2850006 0000A505
	v_readlane_b32 s82, v3, 21                                 // 0000000033A4: D2890052 00012B03
	s_and_b32 s82, s82, 0xffffff                               // 0000000033AC: 8652FF52 00FFFFFF
	v_mul_lo_u32 v7, v4, s82                                   // 0000000033B4: D2850007 0000A504
	v_add_u32_e32 v76, v6, v7                                  // 0000000033BC: 68980F06
	v_mul_lo_u32 v76, v76, s68                                 // 0000000033C0: D285004C 0000894C
	v_readlane_b32 s82, v3, 22                                 // 0000000033C8: D2890052 00012D03
	s_and_b32 s82, s82, 0xffffff                               // 0000000033D0: 8652FF52 00FFFFFF
	v_mul_lo_u32 v6, v5, s82                                   // 0000000033D8: D2850006 0000A505
	v_readlane_b32 s82, v3, 23                                 // 0000000033E0: D2890052 00012F03
	s_and_b32 s82, s82, 0xffffff                               // 0000000033E8: 8652FF52 00FFFFFF
	v_mul_lo_u32 v7, v4, s82                                   // 0000000033F0: D2850007 0000A504
	v_add_u32_e32 v77, v6, v7                                  // 0000000033F8: 689A0F06
	v_mul_lo_u32 v77, v77, s68                                 // 0000000033FC: D285004D 0000894D
	v_readlane_b32 s82, v3, 24                                 // 000000003404: D2890052 00013103
	s_and_b32 s82, s82, 0xffffff                               // 00000000340C: 8652FF52 00FFFFFF
	v_mul_lo_u32 v6, v5, s82                                   // 000000003414: D2850006 0000A505
	v_readlane_b32 s82, v3, 25                                 // 00000000341C: D2890052 00013303
	s_and_b32 s82, s82, 0xffffff                               // 000000003424: 8652FF52 00FFFFFF
	v_mul_lo_u32 v7, v4, s82                                   // 00000000342C: D2850007 0000A504
	v_add_u32_e32 v78, v6, v7                                  // 000000003434: 689C0F06
	v_mul_lo_u32 v78, v78, s68                                 // 000000003438: D285004E 0000894E
	v_readlane_b32 s82, v3, 26                                 // 000000003440: D2890052 00013503
	s_and_b32 s82, s82, 0xffffff                               // 000000003448: 8652FF52 00FFFFFF
	v_mul_lo_u32 v6, v5, s82                                   // 000000003450: D2850006 0000A505
	v_readlane_b32 s82, v3, 27                                 // 000000003458: D2890052 00013703
	s_and_b32 s82, s82, 0xffffff                               // 000000003460: 8652FF52 00FFFFFF
	v_mul_lo_u32 v7, v4, s82                                   // 000000003468: D2850007 0000A504
	v_add_u32_e32 v79, v6, v7                                  // 000000003470: 689E0F06
	v_mul_lo_u32 v79, v79, s68                                 // 000000003474: D285004F 0000894F
	v_readlane_b32 s82, v3, 28                                 // 00000000347C: D2890052 00013903
	s_and_b32 s82, s82, 0xffffff                               // 000000003484: 8652FF52 00FFFFFF
	v_mul_lo_u32 v6, v5, s82                                   // 00000000348C: D2850006 0000A505
	v_readlane_b32 s82, v3, 29                                 // 000000003494: D2890052 00013B03
	s_and_b32 s82, s82, 0xffffff                               // 00000000349C: 8652FF52 00FFFFFF
	v_mul_lo_u32 v7, v4, s82                                   // 0000000034A4: D2850007 0000A504
	v_add_u32_e32 v80, v6, v7                                  // 0000000034AC: 68A00F06
	v_mul_lo_u32 v80, v80, s68                                 // 0000000034B0: D2850050 00008950
	v_readlane_b32 s82, v3, 30                                 // 0000000034B8: D2890052 00013D03
	s_and_b32 s82, s82, 0xffffff                               // 0000000034C0: 8652FF52 00FFFFFF
	v_mul_lo_u32 v6, v5, s82                                   // 0000000034C8: D2850006 0000A505
	v_readlane_b32 s82, v3, 31                                 // 0000000034D0: D2890052 00013F03
	s_and_b32 s82, s82, 0xffffff                               // 0000000034D8: 8652FF52 00FFFFFF
	v_mul_lo_u32 v7, v4, s82                                   // 0000000034E0: D2850007 0000A504
	v_add_u32_e32 v81, v6, v7                                  // 0000000034E8: 68A20F06
	v_mul_lo_u32 v81, v81, s68                                 // 0000000034EC: D2850051 00008951
	v_readlane_b32 s82, v3, 32                                 // 0000000034F4: D2890052 00014103
	s_and_b32 s82, s82, 0xffffff                               // 0000000034FC: 8652FF52 00FFFFFF
	v_mul_lo_u32 v6, v5, s82                                   // 000000003504: D2850006 0000A505
	v_readlane_b32 s82, v3, 33                                 // 00000000350C: D2890052 00014303
	s_and_b32 s82, s82, 0xffffff                               // 000000003514: 8652FF52 00FFFFFF
	v_mul_lo_u32 v7, v4, s82                                   // 00000000351C: D2850007 0000A504
	v_add_u32_e32 v82, v6, v7                                  // 000000003524: 68A40F06
	v_mul_lo_u32 v82, v82, s68                                 // 000000003528: D2850052 00008952
	v_readlane_b32 s82, v3, 34                                 // 000000003530: D2890052 00014503
	s_and_b32 s82, s82, 0xffffff                               // 000000003538: 8652FF52 00FFFFFF
	v_mul_lo_u32 v6, v5, s82                                   // 000000003540: D2850006 0000A505
	v_readlane_b32 s82, v3, 35                                 // 000000003548: D2890052 00014703
	s_and_b32 s82, s82, 0xffffff                               // 000000003550: 8652FF52 00FFFFFF
	v_mul_lo_u32 v7, v4, s82                                   // 000000003558: D2850007 0000A504
	v_add_u32_e32 v83, v6, v7                                  // 000000003560: 68A60F06
	v_mul_lo_u32 v83, v83, s68                                 // 000000003564: D2850053 00008953
	v_and_b32_e32 v4, 31, v0                                   // 00000000356C: 2608009F
	v_lshlrev_b32_e32 v4, 2, v4                                // 000000003570: 24080882
	v_add_u32_e32 v66, v66, v4                                 // 000000003574: 68840942
	v_add_u32_e32 v67, v67, v4                                 // 000000003578: 68860943
	v_add_u32_e32 v68, v68, v4                                 // 00000000357C: 68880944
	v_add_u32_e32 v69, v69, v4                                 // 000000003580: 688A0945
	v_add_u32_e32 v70, v70, v4                                 // 000000003584: 688C0946
	v_add_u32_e32 v71, v71, v4                                 // 000000003588: 688E0947
	v_add_u32_e32 v72, v72, v4                                 // 00000000358C: 68900948
	v_add_u32_e32 v73, v73, v4                                 // 000000003590: 68920949
	v_add_u32_e32 v74, v74, v4                                 // 000000003594: 6894094A
	v_add_u32_e32 v75, v75, v4                                 // 000000003598: 6896094B
	v_add_u32_e32 v76, v76, v4                                 // 00000000359C: 6898094C
	v_add_u32_e32 v77, v77, v4                                 // 0000000035A0: 689A094D
	v_add_u32_e32 v78, v78, v4                                 // 0000000035A4: 689C094E
	v_add_u32_e32 v79, v79, v4                                 // 0000000035A8: 689E094F
	v_add_u32_e32 v80, v80, v4                                 // 0000000035AC: 68A00950
	v_add_u32_e32 v81, v81, v4                                 // 0000000035B0: 68A20951
	v_add_u32_e32 v82, v82, v4                                 // 0000000035B4: 68A40952
	v_add_u32_e32 v83, v83, v4                                 // 0000000035B8: 68A60953
	v_and_b32_e32 v30, 0xffffff, v30                           // 0000000035BC: 263C3CFF 00FFFFFF
	v_lshlrev_b32_e32 v30, 2, v30                              // 0000000035C4: 243C3C82
	v_and_b32_e32 v31, 0xffffff, v31                           // 0000000035C8: 263E3EFF 00FFFFFF
	v_lshlrev_b32_e32 v31, 2, v31                              // 0000000035D0: 243E3E82
	v_and_b32_e32 v32, 0xffffff, v32                           // 0000000035D4: 264040FF 00FFFFFF
	v_lshlrev_b32_e32 v32, 2, v32                              // 0000000035DC: 24404082
	v_and_b32_e32 v33, 0xffffff, v33                           // 0000000035E0: 264242FF 00FFFFFF
	v_lshlrev_b32_e32 v33, 2, v33                              // 0000000035E8: 24424282
	v_and_b32_e32 v34, 0xffffff, v34                           // 0000000035EC: 264444FF 00FFFFFF
	v_lshlrev_b32_e32 v34, 2, v34                              // 0000000035F4: 24444482
	v_and_b32_e32 v35, 0xffffff, v35                           // 0000000035F8: 264646FF 00FFFFFF
	v_lshlrev_b32_e32 v35, 2, v35                              // 000000003600: 24464682
	v_and_b32_e32 v36, 0xffffff, v36                           // 000000003604: 264848FF 00FFFFFF
	v_lshlrev_b32_e32 v36, 2, v36                              // 00000000360C: 24484882
	v_and_b32_e32 v37, 0xffffff, v37                           // 000000003610: 264A4AFF 00FFFFFF
	v_lshlrev_b32_e32 v37, 2, v37                              // 000000003618: 244A4A82
	v_and_b32_e32 v38, 0xffffff, v38                           // 00000000361C: 264C4CFF 00FFFFFF
	v_lshlrev_b32_e32 v38, 2, v38                              // 000000003624: 244C4C82
	s_lshl_b32 s3, s66, 2                                      // 000000003628: 8E038242
	buffer_load_dword v66, s[20:23], 0 offen lds               // 00000000362C: E0511000 80050042
	s_add_u32 m0, 0x100, s48                                   // 000000003634: 807C30FF 00000100
	buffer_load_dword v67, s[20:23], 0 offen lds               // 00000000363C: E0511000 80050043
	s_add_u32 m0, 0x200, s48                                   // 000000003644: 807C30FF 00000200
	buffer_load_dword v68, s[20:23], 0 offen lds               // 00000000364C: E0511000 80050044
	s_add_u32 m0, 0x300, s48                                   // 000000003654: 807C30FF 00000300
	buffer_load_dword v69, s[20:23], 0 offen lds               // 00000000365C: E0511000 80050045
	s_add_u32 m0, 0x400, s48                                   // 000000003664: 807C30FF 00000400
	buffer_load_dword v70, s[20:23], 0 offen lds               // 00000000366C: E0511000 80050046
	s_add_u32 m0, 0x500, s48                                   // 000000003674: 807C30FF 00000500
	buffer_load_dword v71, s[20:23], 0 offen lds               // 00000000367C: E0511000 80050047
	s_add_u32 m0, 0x600, s48                                   // 000000003684: 807C30FF 00000600
	buffer_load_dword v72, s[20:23], 0 offen lds               // 00000000368C: E0511000 80050048
	s_add_u32 m0, 0x700, s48                                   // 000000003694: 807C30FF 00000700
	buffer_load_dword v73, s[20:23], 0 offen lds               // 00000000369C: E0511000 80050049
	s_add_u32 m0, 0x800, s48                                   // 0000000036A4: 807C30FF 00000800
	buffer_load_dword v74, s[20:23], 0 offen lds               // 0000000036AC: E0511000 8005004A
	s_add_u32 m0, 0x900, s48                                   // 0000000036B4: 807C30FF 00000900
	buffer_load_dword v75, s[20:23], 0 offen lds               // 0000000036BC: E0511000 8005004B
	s_add_u32 m0, 0xa00, s48                                   // 0000000036C4: 807C30FF 00000A00
	buffer_load_dword v76, s[20:23], 0 offen lds               // 0000000036CC: E0511000 8005004C
	s_add_u32 m0, 0xb00, s48                                   // 0000000036D4: 807C30FF 00000B00
	buffer_load_dword v77, s[20:23], 0 offen lds               // 0000000036DC: E0511000 8005004D
	s_add_u32 m0, 0xc00, s48                                   // 0000000036E4: 807C30FF 00000C00
	buffer_load_dword v78, s[20:23], 0 offen lds               // 0000000036EC: E0511000 8005004E
	s_add_u32 m0, 0xd00, s48                                   // 0000000036F4: 807C30FF 00000D00
	buffer_load_dword v79, s[20:23], 0 offen lds               // 0000000036FC: E0511000 8005004F
	s_add_u32 m0, 0xe00, s48                                   // 000000003704: 807C30FF 00000E00
	buffer_load_dword v80, s[20:23], 0 offen lds               // 00000000370C: E0511000 80050050
	s_add_u32 m0, 0xf00, s48                                   // 000000003714: 807C30FF 00000F00
	buffer_load_dword v81, s[20:23], 0 offen lds               // 00000000371C: E0511000 80050051
	s_add_u32 m0, 0x1000, s48                                  // 000000003724: 807C30FF 00001000
	buffer_load_dword v82, s[20:23], 0 offen lds               // 00000000372C: E0511000 80050052
	s_add_u32 m0, 0x1100, s48                                  // 000000003734: 807C30FF 00001100
	buffer_load_dword v83, s[20:23], 0 offen lds               // 00000000373C: E0511000 80050053
	s_add_u32 m0, 0, s49                                       // 000000003744: 807C3180
	s_add_u32 s20, s57, s20                                    // 000000003748: 80141439
	s_addc_u32 s21, 0, s21                                     // 00000000374C: 82151580
	buffer_load_dword v39, v30, s[28:31], 0 offen              // 000000003750: E0501000 8007271E
	buffer_load_dword v40, v31, s[28:31], 0 offen              // 000000003758: E0501000 8007281F
	buffer_load_dword v41, v32, s[28:31], 0 offen              // 000000003760: E0501000 80072920
	buffer_load_dword v42, v33, s[28:31], 0 offen              // 000000003768: E0501000 80072A21
	buffer_load_dword v43, v34, s[28:31], 0 offen              // 000000003770: E0501000 80072B22
	buffer_load_dword v44, v35, s[28:31], 0 offen              // 000000003778: E0501000 80072C23
	buffer_load_dword v45, v36, s[28:31], 0 offen              // 000000003780: E0501000 80072D24
	buffer_load_dword v46, v37, s[28:31], 0 offen              // 000000003788: E0501000 80072E25
	buffer_load_dword v47, v38, s[28:31], 0 offen              // 000000003790: E0501000 80072F26
	s_add_u32 s28, s3, s28                                     // 000000003798: 801C1C03
	s_addc_u32 s29, 0, s29                                     // 00000000379C: 821D1D80
	buffer_load_dwordx4 a[144:147], v84, s[24:27], 0 offen     // 0000000037A0: E05C1000 80869054
	buffer_load_dwordx4 a[148:151], v84, s[24:27], 0 offen offset:1024// 0000000037A8: E05C1400 80869454
	buffer_load_dwordx4 a[152:155], v85, s[24:27], 0 offen     // 0000000037B0: E05C1000 80869855
	buffer_load_dwordx4 a[156:159], v85, s[24:27], 0 offen offset:1024// 0000000037B8: E05C1400 80869C55
	s_add_u32 s24, s58, s24                                    // 0000000037C0: 8018183A
	s_addc_u32 s25, 0, s25                                     // 0000000037C4: 82191980
	buffer_load_dword v24, v22, s[32:35], 0 offen              // 0000000037C8: E0501000 80081816
	buffer_load_dword v66, s[20:23], 0 offen lds               // 0000000037D0: E0511000 80050042
	s_add_u32 m0, 0x100, s49                                   // 0000000037D8: 807C31FF 00000100
	buffer_load_dword v67, s[20:23], 0 offen lds               // 0000000037E0: E0511000 80050043
	s_add_u32 m0, 0x200, s49                                   // 0000000037E8: 807C31FF 00000200
	buffer_load_dword v68, s[20:23], 0 offen lds               // 0000000037F0: E0511000 80050044
	s_add_u32 m0, 0x300, s49                                   // 0000000037F8: 807C31FF 00000300
	buffer_load_dword v69, s[20:23], 0 offen lds               // 000000003800: E0511000 80050045
	s_add_u32 m0, 0x400, s49                                   // 000000003808: 807C31FF 00000400
	buffer_load_dword v70, s[20:23], 0 offen lds               // 000000003810: E0511000 80050046
	s_add_u32 m0, 0x500, s49                                   // 000000003818: 807C31FF 00000500
	;; [unrolled: 2-line block ×5, first 2 shown]
	buffer_load_dword v74, s[20:23], 0 offen lds               // 000000003850: E0511000 8005004A
	s_add_u32 m0, 0x900, s49                                   // 000000003858: 807C31FF 00000900
	buffer_load_dword v75, s[20:23], 0 offen lds               // 000000003860: E0511000 8005004B
	s_add_u32 m0, 0xa00, s49                                   // 000000003868: 807C31FF 00000A00
	buffer_load_dword v76, s[20:23], 0 offen lds               // 000000003870: E0511000 8005004C
	s_add_u32 m0, 0xb00, s49                                   // 000000003878: 807C31FF 00000B00
	buffer_load_dword v77, s[20:23], 0 offen lds               // 000000003880: E0511000 8005004D
	s_add_u32 m0, 0xc00, s49                                   // 000000003888: 807C31FF 00000C00
	buffer_load_dword v78, s[20:23], 0 offen lds               // 000000003890: E0511000 8005004E
	s_add_u32 m0, 0xd00, s49                                   // 000000003898: 807C31FF 00000D00
	buffer_load_dword v79, s[20:23], 0 offen lds               // 0000000038A0: E0511000 8005004F
	s_add_u32 m0, 0xe00, s49                                   // 0000000038A8: 807C31FF 00000E00
	buffer_load_dword v80, s[20:23], 0 offen lds               // 0000000038B0: E0511000 80050050
	s_add_u32 m0, 0xf00, s49                                   // 0000000038B8: 807C31FF 00000F00
	buffer_load_dword v81, s[20:23], 0 offen lds               // 0000000038C0: E0511000 80050051
	s_add_u32 m0, 0x1000, s49                                  // 0000000038C8: 807C31FF 00001000
	buffer_load_dword v82, s[20:23], 0 offen lds               // 0000000038D0: E0511000 80050052
	s_add_u32 m0, 0x1100, s49                                  // 0000000038D8: 807C31FF 00001100
	buffer_load_dword v83, s[20:23], 0 offen lds               // 0000000038E0: E0511000 80050053
	s_add_u32 m0, 0, s50                                       // 0000000038E8: 807C3280
	s_add_u32 s20, s57, s20                                    // 0000000038EC: 80141439
	s_addc_u32 s21, 0, s21                                     // 0000000038F0: 82151580
	buffer_load_dword v48, v30, s[28:31], 0 offen              // 0000000038F4: E0501000 8007301E
	buffer_load_dword v49, v31, s[28:31], 0 offen              // 0000000038FC: E0501000 8007311F
	buffer_load_dword v50, v32, s[28:31], 0 offen              // 000000003904: E0501000 80073220
	buffer_load_dword v51, v33, s[28:31], 0 offen              // 00000000390C: E0501000 80073321
	buffer_load_dword v52, v34, s[28:31], 0 offen              // 000000003914: E0501000 80073422
	buffer_load_dword v53, v35, s[28:31], 0 offen              // 00000000391C: E0501000 80073523
	buffer_load_dword v54, v36, s[28:31], 0 offen              // 000000003924: E0501000 80073624
	buffer_load_dword v55, v37, s[28:31], 0 offen              // 00000000392C: E0501000 80073725
	buffer_load_dword v56, v38, s[28:31], 0 offen              // 000000003934: E0501000 80073826
	s_add_u32 s28, s3, s28                                     // 00000000393C: 801C1C03
	s_addc_u32 s29, 0, s29                                     // 000000003940: 821D1D80
	buffer_load_dwordx4 a[160:163], v84, s[84:87], 0 offen     // 000000003944: E05C1000 8095A054
	buffer_load_dwordx4 a[164:167], v84, s[84:87], 0 offen offset:1024// 00000000394C: E05C1400 8095A454
	buffer_load_dwordx4 a[168:171], v85, s[84:87], 0 offen     // 000000003954: E05C1000 8095A855
	buffer_load_dwordx4 a[172:175], v85, s[84:87], 0 offen offset:1024// 00000000395C: E05C1400 8095AC55
	s_add_u32 s84, s83, s84                                    // 000000003964: 80545453
	s_addc_u32 s85, 0, s85                                     // 000000003968: 82555580
	buffer_load_dword v27, v23, s[32:35], 0 offen              // 00000000396C: E0501000 80081B17
	s_add_u32 s32, s4, s32                                     // 000000003974: 80202004
	s_addc_u32 s33, 0, s33                                     // 000000003978: 82212180
	s_waitcnt vmcnt(46)                                        // 00000000397C: BF8C8F7E
	s_barrier                                                  // 000000003980: BF8A0000
	ds_read_b128 a[0:3], v2                                    // 000000003984: DBFE0000 00000002
	ds_read_b128 a[4:7], v2 offset:64                          // 00000000398C: DBFE0040 04000002
	ds_read_b128 a[8:11], v2 offset:512                        // 000000003994: DBFE0200 08000002
	ds_read_b128 a[12:15], v2 offset:576                       // 00000000399C: DBFE0240 0C000002
	ds_read_b128 a[16:19], v2 offset:1024                      // 0000000039A4: DBFE0400 10000002
	ds_read_b128 a[20:23], v2 offset:1088                      // 0000000039AC: DBFE0440 14000002
	ds_read_b128 a[24:27], v2 offset:1536                      // 0000000039B4: DBFE0600 18000002
	ds_read_b128 a[28:31], v2 offset:1600                      // 0000000039BC: DBFE0640 1C000002
	ds_read_b128 a[32:35], v2 offset:2048                      // 0000000039C4: DBFE0800 20000002
	ds_read_b128 a[36:39], v2 offset:2112                      // 0000000039CC: DBFE0840 24000002
	ds_read_b128 a[40:43], v2 offset:2560                      // 0000000039D4: DBFE0A00 28000002
	ds_read_b128 a[44:47], v2 offset:2624                      // 0000000039DC: DBFE0A40 2C000002
	ds_read_b128 a[48:51], v2 offset:3072                      // 0000000039E4: DBFE0C00 30000002
	ds_read_b128 a[52:55], v2 offset:3136                      // 0000000039EC: DBFE0C40 34000002
	ds_read_b128 a[56:59], v2 offset:3584                      // 0000000039F4: DBFE0E00 38000002
	ds_read_b128 a[60:63], v2 offset:3648                      // 0000000039FC: DBFE0E40 3C000002
	ds_read_b128 a[64:67], v2 offset:4096                      // 000000003A04: DBFE1000 40000002
	ds_read_b128 a[68:71], v2 offset:4160                      // 000000003A0C: DBFE1040 44000002
	s_cmp_lt_i32 s7, 2                                         // 000000003A14: BF048207
	s_cbranch_scc0 label_2B85                                  // 000000003A18: BF84277B

0000000000003a1c <label_0407>:
	s_waitcnt vmcnt(32) lgkmcnt(0)                             // 000000003A1C: BF8C8070
	v_mul_f32_dpp v4, v24, v39 row_newbcast:0 row_mask:0xf bank_mask:0xf// 000000003A20: 0A084EFA FF015018
	v_mfma_f32_16x16x32_fp8_fp8 v[8:11], a[144:145], a[0:1], 0 // 000000003A28: D3F30008 1A020190
	buffer_load_dword v25, v22, s[32:35], 0 offen              // 000000003A30: E0501000 80081916
	v_mfma_f32_16x16x32_fp8_fp8 v[8:11], a[146:147], a[2:3], v[8:11]// 000000003A38: D3F30008 1C220592
	buffer_load_dwordx4 a[176:179], v84, s[24:27], 0 offen     // 000000003A40: E05C1000 8086B054
	v_mfma_f32_16x16x32_fp8_fp8 v[8:11], a[148:149], a[4:5], v[8:11]// 000000003A48: D3F30008 1C220994
	v_mfma_f32_16x16x32_fp8_fp8 v[8:11], a[150:151], a[6:7], v[8:11]// 000000003A50: D3F30008 1C220D96
	v_mfma_f32_16x16x32_fp8_fp8 v[12:15], a[152:153], a[0:1], 0// 000000003A58: D3F3000C 1A020198
	v_mfma_f32_16x16x32_fp8_fp8 v[12:15], a[154:155], a[2:3], v[12:15]// 000000003A60: D3F3000C 1C32059A
	buffer_load_dwordx4 a[180:183], v84, s[24:27], 0 offen offset:1024// 000000003A68: E05C1400 8086B454
	v_mfma_f32_16x16x32_fp8_fp8 v[12:15], a[156:157], a[4:5], v[12:15]// 000000003A70: D3F3000C 1C32099C
	v_mfma_f32_16x16x32_fp8_fp8 v[12:15], a[158:159], a[6:7], v[12:15]// 000000003A78: D3F3000C 1C320D9E
	v_fma_f32 v88, v8, v4, v88                                 // 000000003A80: D1CB0058 05620908
	v_fma_f32 v89, v9, v4, v89                                 // 000000003A88: D1CB0059 05660909
	v_fma_f32 v90, v10, v4, v90                                // 000000003A90: D1CB005A 056A090A
	v_fma_f32 v91, v11, v4, v91                                // 000000003A98: D1CB005B 056E090B
	v_mul_f32_dpp v6, v24, v40 row_newbcast:0 row_mask:0xf bank_mask:0xf// 000000003AA0: 0A0C50FA FF015018
	v_mfma_f32_16x16x32_fp8_fp8 v[8:11], a[144:145], a[8:9], 0 // 000000003AA8: D3F30008 1A021190
	v_mfma_f32_16x16x32_fp8_fp8 v[8:11], a[146:147], a[10:11], v[8:11]// 000000003AB0: D3F30008 1C221592
	buffer_load_dwordx4 a[184:187], v85, s[24:27], 0 offen     // 000000003AB8: E05C1000 8086B855
	v_mfma_f32_16x16x32_fp8_fp8 v[8:11], a[148:149], a[12:13], v[8:11]// 000000003AC0: D3F30008 1C221994
	v_mfma_f32_16x16x32_fp8_fp8 v[8:11], a[150:151], a[14:15], v[8:11]// 000000003AC8: D3F30008 1C221D96
	v_fma_f32 v124, v12, v4, v124                              // 000000003AD0: D1CB007C 05F2090C
	v_fma_f32 v125, v13, v4, v125                              // 000000003AD8: D1CB007D 05F6090D
	v_fma_f32 v126, v14, v4, v126                              // 000000003AE0: D1CB007E 05FA090E
	v_fma_f32 v127, v15, v4, v127                              // 000000003AE8: D1CB007F 05FE090F
	v_mfma_f32_16x16x32_fp8_fp8 v[12:15], a[152:153], a[8:9], 0// 000000003AF0: D3F3000C 1A021198
	v_mfma_f32_16x16x32_fp8_fp8 v[12:15], a[154:155], a[10:11], v[12:15]// 000000003AF8: D3F3000C 1C32159A
	buffer_load_dwordx4 a[188:191], v85, s[24:27], 0 offen offset:1024// 000000003B00: E05C1400 8086BC55
	buffer_load_dword v66, s[20:23], 0 offen lds               // 000000003B08: E0511000 80050042
	s_add_u32 m0, 0x100, s50                                   // 000000003B10: 807C32FF 00000100
	v_mfma_f32_16x16x32_fp8_fp8 v[12:15], a[156:157], a[12:13], v[12:15]// 000000003B18: D3F3000C 1C32199C
	v_mfma_f32_16x16x32_fp8_fp8 v[12:15], a[158:159], a[14:15], v[12:15]// 000000003B20: D3F3000C 1C321D9E
	buffer_load_dword v67, s[20:23], 0 offen lds               // 000000003B28: E0511000 80050043
	s_add_u32 m0, 0x200, s50                                   // 000000003B30: 807C32FF 00000200
	v_fma_f32 v92, v8, v6, v92                                 // 000000003B38: D1CB005C 05720D08
	v_fma_f32 v93, v9, v6, v93                                 // 000000003B40: D1CB005D 05760D09
	v_fma_f32 v94, v10, v6, v94                                // 000000003B48: D1CB005E 057A0D0A
	v_fma_f32 v95, v11, v6, v95                                // 000000003B50: D1CB005F 057E0D0B
	v_mul_f32_dpp v4, v24, v41 row_newbcast:0 row_mask:0xf bank_mask:0xf// 000000003B58: 0A0852FA FF015018
	v_mfma_f32_16x16x32_fp8_fp8 v[8:11], a[144:145], a[16:17], 0// 000000003B60: D3F30008 1A022190
	v_mfma_f32_16x16x32_fp8_fp8 v[8:11], a[146:147], a[18:19], v[8:11]// 000000003B68: D3F30008 1C222592
	buffer_load_dword v68, s[20:23], 0 offen lds               // 000000003B70: E0511000 80050044
	s_add_u32 m0, 0x300, s50                                   // 000000003B78: 807C32FF 00000300
	v_mfma_f32_16x16x32_fp8_fp8 v[8:11], a[148:149], a[20:21], v[8:11]// 000000003B80: D3F30008 1C222994
	v_mfma_f32_16x16x32_fp8_fp8 v[8:11], a[150:151], a[22:23], v[8:11]// 000000003B88: D3F30008 1C222D96
	buffer_load_dword v69, s[20:23], 0 offen lds               // 000000003B90: E0511000 80050045
	s_add_u32 m0, 0x400, s50                                   // 000000003B98: 807C32FF 00000400
	v_fma_f32 v128, v12, v6, v128                              // 000000003BA0: D1CB0080 06020D0C
	v_fma_f32 v129, v13, v6, v129                              // 000000003BA8: D1CB0081 06060D0D
	v_fma_f32 v130, v14, v6, v130                              // 000000003BB0: D1CB0082 060A0D0E
	v_fma_f32 v131, v15, v6, v131                              // 000000003BB8: D1CB0083 060E0D0F
	v_mfma_f32_16x16x32_fp8_fp8 v[12:15], a[152:153], a[16:17], 0// 000000003BC0: D3F3000C 1A022198
	v_mfma_f32_16x16x32_fp8_fp8 v[12:15], a[154:155], a[18:19], v[12:15]// 000000003BC8: D3F3000C 1C32259A
	buffer_load_dword v70, s[20:23], 0 offen lds               // 000000003BD0: E0511000 80050046
	s_add_u32 m0, 0x500, s50                                   // 000000003BD8: 807C32FF 00000500
	v_mfma_f32_16x16x32_fp8_fp8 v[12:15], a[156:157], a[20:21], v[12:15]// 000000003BE0: D3F3000C 1C32299C
	v_mfma_f32_16x16x32_fp8_fp8 v[12:15], a[158:159], a[22:23], v[12:15]// 000000003BE8: D3F3000C 1C322D9E
	buffer_load_dword v71, s[20:23], 0 offen lds               // 000000003BF0: E0511000 80050047
	s_add_u32 m0, 0x600, s50                                   // 000000003BF8: 807C32FF 00000600
	v_fma_f32 v96, v8, v4, v96                                 // 000000003C00: D1CB0060 05820908
	v_fma_f32 v97, v9, v4, v97                                 // 000000003C08: D1CB0061 05860909
	v_fma_f32 v98, v10, v4, v98                                // 000000003C10: D1CB0062 058A090A
	v_fma_f32 v99, v11, v4, v99                                // 000000003C18: D1CB0063 058E090B
	v_mul_f32_dpp v6, v24, v42 row_newbcast:0 row_mask:0xf bank_mask:0xf// 000000003C20: 0A0C54FA FF015018
	v_mfma_f32_16x16x32_fp8_fp8 v[8:11], a[144:145], a[24:25], 0// 000000003C28: D3F30008 1A023190
	v_mfma_f32_16x16x32_fp8_fp8 v[8:11], a[146:147], a[26:27], v[8:11]// 000000003C30: D3F30008 1C223592
	buffer_load_dword v72, s[20:23], 0 offen lds               // 000000003C38: E0511000 80050048
	s_add_u32 m0, 0x700, s50                                   // 000000003C40: 807C32FF 00000700
	v_mfma_f32_16x16x32_fp8_fp8 v[8:11], a[148:149], a[28:29], v[8:11]// 000000003C48: D3F30008 1C223994
	v_mfma_f32_16x16x32_fp8_fp8 v[8:11], a[150:151], a[30:31], v[8:11]// 000000003C50: D3F30008 1C223D96
	buffer_load_dword v73, s[20:23], 0 offen lds               // 000000003C58: E0511000 80050049
	s_add_u32 m0, 0x800, s50                                   // 000000003C60: 807C32FF 00000800
	v_fma_f32 v132, v12, v4, v132                              // 000000003C68: D1CB0084 0612090C
	v_fma_f32 v133, v13, v4, v133                              // 000000003C70: D1CB0085 0616090D
	v_fma_f32 v134, v14, v4, v134                              // 000000003C78: D1CB0086 061A090E
	v_fma_f32 v135, v15, v4, v135                              // 000000003C80: D1CB0087 061E090F
	v_mfma_f32_16x16x32_fp8_fp8 v[12:15], a[152:153], a[24:25], 0// 000000003C88: D3F3000C 1A023198
	v_mfma_f32_16x16x32_fp8_fp8 v[12:15], a[154:155], a[26:27], v[12:15]// 000000003C90: D3F3000C 1C32359A
	buffer_load_dword v74, s[20:23], 0 offen lds               // 000000003C98: E0511000 8005004A
	s_add_u32 m0, 0x900, s50                                   // 000000003CA0: 807C32FF 00000900
	v_mfma_f32_16x16x32_fp8_fp8 v[12:15], a[156:157], a[28:29], v[12:15]// 000000003CA8: D3F3000C 1C32399C
	v_mfma_f32_16x16x32_fp8_fp8 v[12:15], a[158:159], a[30:31], v[12:15]// 000000003CB0: D3F3000C 1C323D9E
	buffer_load_dword v75, s[20:23], 0 offen lds               // 000000003CB8: E0511000 8005004B
	s_add_u32 m0, 0xa00, s50                                   // 000000003CC0: 807C32FF 00000A00
	v_fma_f32 v100, v8, v6, v100                               // 000000003CC8: D1CB0064 05920D08
	v_fma_f32 v101, v9, v6, v101                               // 000000003CD0: D1CB0065 05960D09
	v_fma_f32 v102, v10, v6, v102                              // 000000003CD8: D1CB0066 059A0D0A
	v_fma_f32 v103, v11, v6, v103                              // 000000003CE0: D1CB0067 059E0D0B
	v_mul_f32_dpp v4, v24, v43 row_newbcast:0 row_mask:0xf bank_mask:0xf// 000000003CE8: 0A0856FA FF015018
	v_mfma_f32_16x16x32_fp8_fp8 v[8:11], a[144:145], a[32:33], 0// 000000003CF0: D3F30008 1A024190
	v_mfma_f32_16x16x32_fp8_fp8 v[8:11], a[146:147], a[34:35], v[8:11]// 000000003CF8: D3F30008 1C224592
	buffer_load_dword v76, s[20:23], 0 offen lds               // 000000003D00: E0511000 8005004C
	s_add_u32 m0, 0xb00, s50                                   // 000000003D08: 807C32FF 00000B00
	v_mfma_f32_16x16x32_fp8_fp8 v[8:11], a[148:149], a[36:37], v[8:11]// 000000003D10: D3F30008 1C224994
	v_mfma_f32_16x16x32_fp8_fp8 v[8:11], a[150:151], a[38:39], v[8:11]// 000000003D18: D3F30008 1C224D96
	buffer_load_dword v77, s[20:23], 0 offen lds               // 000000003D20: E0511000 8005004D
	s_add_u32 m0, 0xc00, s50                                   // 000000003D28: 807C32FF 00000C00
	v_fma_f32 v136, v12, v6, v136                              // 000000003D30: D1CB0088 06220D0C
	v_fma_f32 v137, v13, v6, v137                              // 000000003D38: D1CB0089 06260D0D
	v_fma_f32 v138, v14, v6, v138                              // 000000003D40: D1CB008A 062A0D0E
	v_fma_f32 v139, v15, v6, v139                              // 000000003D48: D1CB008B 062E0D0F
	v_mfma_f32_16x16x32_fp8_fp8 v[12:15], a[152:153], a[32:33], 0// 000000003D50: D3F3000C 1A024198
	v_mfma_f32_16x16x32_fp8_fp8 v[12:15], a[154:155], a[34:35], v[12:15]// 000000003D58: D3F3000C 1C32459A
	buffer_load_dword v78, s[20:23], 0 offen lds               // 000000003D60: E0511000 8005004E
	s_add_u32 m0, 0xd00, s50                                   // 000000003D68: 807C32FF 00000D00
	v_mfma_f32_16x16x32_fp8_fp8 v[12:15], a[156:157], a[36:37], v[12:15]// 000000003D70: D3F3000C 1C32499C
	v_mfma_f32_16x16x32_fp8_fp8 v[12:15], a[158:159], a[38:39], v[12:15]// 000000003D78: D3F3000C 1C324D9E
	buffer_load_dword v79, s[20:23], 0 offen lds               // 000000003D80: E0511000 8005004F
	s_add_u32 m0, 0xe00, s50                                   // 000000003D88: 807C32FF 00000E00
	v_fma_f32 v104, v8, v4, v104                               // 000000003D90: D1CB0068 05A20908
	v_fma_f32 v105, v9, v4, v105                               // 000000003D98: D1CB0069 05A60909
	v_fma_f32 v106, v10, v4, v106                              // 000000003DA0: D1CB006A 05AA090A
	v_fma_f32 v107, v11, v4, v107                              // 000000003DA8: D1CB006B 05AE090B
	v_mul_f32_dpp v6, v24, v44 row_newbcast:0 row_mask:0xf bank_mask:0xf// 000000003DB0: 0A0C58FA FF015018
	v_mfma_f32_16x16x32_fp8_fp8 v[8:11], a[144:145], a[40:41], 0// 000000003DB8: D3F30008 1A025190
	v_mfma_f32_16x16x32_fp8_fp8 v[8:11], a[146:147], a[42:43], v[8:11]// 000000003DC0: D3F30008 1C225592
	buffer_load_dword v80, s[20:23], 0 offen lds               // 000000003DC8: E0511000 80050050
	s_add_u32 m0, 0xf00, s50                                   // 000000003DD0: 807C32FF 00000F00
	v_mfma_f32_16x16x32_fp8_fp8 v[8:11], a[148:149], a[44:45], v[8:11]// 000000003DD8: D3F30008 1C225994
	v_mfma_f32_16x16x32_fp8_fp8 v[8:11], a[150:151], a[46:47], v[8:11]// 000000003DE0: D3F30008 1C225D96
	buffer_load_dword v81, s[20:23], 0 offen lds               // 000000003DE8: E0511000 80050051
	s_add_u32 m0, 0x1000, s50                                  // 000000003DF0: 807C32FF 00001000
	v_fma_f32 v140, v12, v4, v140                              // 000000003DF8: D1CB008C 0632090C
	v_fma_f32 v141, v13, v4, v141                              // 000000003E00: D1CB008D 0636090D
	v_fma_f32 v142, v14, v4, v142                              // 000000003E08: D1CB008E 063A090E
	v_fma_f32 v143, v15, v4, v143                              // 000000003E10: D1CB008F 063E090F
	v_mfma_f32_16x16x32_fp8_fp8 v[12:15], a[152:153], a[40:41], 0// 000000003E18: D3F3000C 1A025198
	v_mfma_f32_16x16x32_fp8_fp8 v[12:15], a[154:155], a[42:43], v[12:15]// 000000003E20: D3F3000C 1C32559A
	buffer_load_dword v82, s[20:23], 0 offen lds               // 000000003E28: E0511000 80050052
	s_add_u32 m0, 0x1100, s50                                  // 000000003E30: 807C32FF 00001100
	v_mfma_f32_16x16x32_fp8_fp8 v[12:15], a[156:157], a[44:45], v[12:15]// 000000003E38: D3F3000C 1C32599C
	v_mfma_f32_16x16x32_fp8_fp8 v[12:15], a[158:159], a[46:47], v[12:15]// 000000003E40: D3F3000C 1C325D9E
	buffer_load_dword v83, s[20:23], 0 offen lds               // 000000003E48: E0511000 80050053
	s_add_u32 m0, 0, s48                                       // 000000003E50: 807C3080
	v_fma_f32 v108, v8, v6, v108                               // 000000003E54: D1CB006C 05B20D08
	v_fma_f32 v109, v9, v6, v109                               // 000000003E5C: D1CB006D 05B60D09
	v_fma_f32 v110, v10, v6, v110                              // 000000003E64: D1CB006E 05BA0D0A
	v_fma_f32 v111, v11, v6, v111                              // 000000003E6C: D1CB006F 05BE0D0B
	v_mul_f32_dpp v4, v24, v45 row_newbcast:0 row_mask:0xf bank_mask:0xf// 000000003E74: 0A085AFA FF015018
	v_mfma_f32_16x16x32_fp8_fp8 v[8:11], a[144:145], a[48:49], 0// 000000003E7C: D3F30008 1A026190
	v_mfma_f32_16x16x32_fp8_fp8 v[8:11], a[146:147], a[50:51], v[8:11]// 000000003E84: D3F30008 1C226592
	buffer_load_dword v57, v30, s[28:31], 0 offen              // 000000003E8C: E0501000 8007391E
	v_mfma_f32_16x16x32_fp8_fp8 v[8:11], a[148:149], a[52:53], v[8:11]// 000000003E94: D3F30008 1C226994
	v_mfma_f32_16x16x32_fp8_fp8 v[8:11], a[150:151], a[54:55], v[8:11]// 000000003E9C: D3F30008 1C226D96
	buffer_load_dword v58, v31, s[28:31], 0 offen              // 000000003EA4: E0501000 80073A1F
	v_fma_f32 v144, v12, v6, v144                              // 000000003EAC: D1CB0090 06420D0C
	v_fma_f32 v145, v13, v6, v145                              // 000000003EB4: D1CB0091 06460D0D
	v_fma_f32 v146, v14, v6, v146                              // 000000003EBC: D1CB0092 064A0D0E
	v_fma_f32 v147, v15, v6, v147                              // 000000003EC4: D1CB0093 064E0D0F
	v_mfma_f32_16x16x32_fp8_fp8 v[12:15], a[152:153], a[48:49], 0// 000000003ECC: D3F3000C 1A026198
	v_mfma_f32_16x16x32_fp8_fp8 v[12:15], a[154:155], a[50:51], v[12:15]// 000000003ED4: D3F3000C 1C32659A
	buffer_load_dword v59, v32, s[28:31], 0 offen              // 000000003EDC: E0501000 80073B20
	v_mfma_f32_16x16x32_fp8_fp8 v[12:15], a[156:157], a[52:53], v[12:15]// 000000003EE4: D3F3000C 1C32699C
	v_mfma_f32_16x16x32_fp8_fp8 v[12:15], a[158:159], a[54:55], v[12:15]// 000000003EEC: D3F3000C 1C326D9E
	buffer_load_dword v60, v33, s[28:31], 0 offen              // 000000003EF4: E0501000 80073C21
	v_fma_f32 v112, v8, v4, v112                               // 000000003EFC: D1CB0070 05C20908
	v_fma_f32 v113, v9, v4, v113                               // 000000003F04: D1CB0071 05C60909
	v_fma_f32 v114, v10, v4, v114                              // 000000003F0C: D1CB0072 05CA090A
	v_fma_f32 v115, v11, v4, v115                              // 000000003F14: D1CB0073 05CE090B
	v_mul_f32_dpp v6, v24, v46 row_newbcast:0 row_mask:0xf bank_mask:0xf// 000000003F1C: 0A0C5CFA FF015018
	v_mfma_f32_16x16x32_fp8_fp8 v[8:11], a[144:145], a[56:57], 0// 000000003F24: D3F30008 1A027190
	v_mfma_f32_16x16x32_fp8_fp8 v[8:11], a[146:147], a[58:59], v[8:11]// 000000003F2C: D3F30008 1C227592
	buffer_load_dword v61, v34, s[28:31], 0 offen              // 000000003F34: E0501000 80073D22
	v_mfma_f32_16x16x32_fp8_fp8 v[8:11], a[148:149], a[60:61], v[8:11]// 000000003F3C: D3F30008 1C227994
	v_mfma_f32_16x16x32_fp8_fp8 v[8:11], a[150:151], a[62:63], v[8:11]// 000000003F44: D3F30008 1C227D96
	buffer_load_dword v62, v35, s[28:31], 0 offen              // 000000003F4C: E0501000 80073E23
	v_fma_f32 v148, v12, v4, v148                              // 000000003F54: D1CB0094 0652090C
	v_fma_f32 v149, v13, v4, v149                              // 000000003F5C: D1CB0095 0656090D
	v_fma_f32 v150, v14, v4, v150                              // 000000003F64: D1CB0096 065A090E
	v_fma_f32 v151, v15, v4, v151                              // 000000003F6C: D1CB0097 065E090F
	v_mfma_f32_16x16x32_fp8_fp8 v[12:15], a[152:153], a[56:57], 0// 000000003F74: D3F3000C 1A027198
	v_mfma_f32_16x16x32_fp8_fp8 v[12:15], a[154:155], a[58:59], v[12:15]// 000000003F7C: D3F3000C 1C32759A
	buffer_load_dword v63, v36, s[28:31], 0 offen              // 000000003F84: E0501000 80073F24
	v_mfma_f32_16x16x32_fp8_fp8 v[12:15], a[156:157], a[60:61], v[12:15]// 000000003F8C: D3F3000C 1C32799C
	v_mfma_f32_16x16x32_fp8_fp8 v[12:15], a[158:159], a[62:63], v[12:15]// 000000003F94: D3F3000C 1C327D9E
	buffer_load_dword v64, v37, s[28:31], 0 offen              // 000000003F9C: E0501000 80074025
	v_fma_f32 v116, v8, v6, v116                               // 000000003FA4: D1CB0074 05D20D08
	v_fma_f32 v117, v9, v6, v117                               // 000000003FAC: D1CB0075 05D60D09
	v_fma_f32 v118, v10, v6, v118                              // 000000003FB4: D1CB0076 05DA0D0A
	v_fma_f32 v119, v11, v6, v119                              // 000000003FBC: D1CB0077 05DE0D0B
	v_mul_f32_dpp v4, v24, v47 row_newbcast:0 row_mask:0xf bank_mask:0xf// 000000003FC4: 0A085EFA FF015018
	v_mfma_f32_16x16x32_fp8_fp8 v[8:11], a[144:145], a[64:65], 0// 000000003FCC: D3F30008 1A028190
	v_mfma_f32_16x16x32_fp8_fp8 v[8:11], a[146:147], a[66:67], v[8:11]// 000000003FD4: D3F30008 1C228592
	buffer_load_dword v65, v38, s[28:31], 0 offen              // 000000003FDC: E0501000 80074126
	v_mfma_f32_16x16x32_fp8_fp8 v[8:11], a[148:149], a[68:69], v[8:11]// 000000003FE4: D3F30008 1C228994
	v_mfma_f32_16x16x32_fp8_fp8 v[8:11], a[150:151], a[70:71], v[8:11]// 000000003FEC: D3F30008 1C228D96
	v_fma_f32 v152, v12, v6, v152                              // 000000003FF4: D1CB0098 06620D0C
	v_fma_f32 v153, v13, v6, v153                              // 000000003FFC: D1CB0099 06660D0D
	v_fma_f32 v154, v14, v6, v154                              // 000000004004: D1CB009A 066A0D0E
	v_fma_f32 v155, v15, v6, v155                              // 00000000400C: D1CB009B 066E0D0F
	v_mfma_f32_16x16x32_fp8_fp8 v[12:15], a[152:153], a[64:65], 0// 000000004014: D3F3000C 1A028198
	v_mfma_f32_16x16x32_fp8_fp8 v[12:15], a[154:155], a[66:67], v[12:15]// 00000000401C: D3F3000C 1C32859A
	v_mfma_f32_16x16x32_fp8_fp8 v[12:15], a[156:157], a[68:69], v[12:15]// 000000004024: D3F3000C 1C32899C
	v_mfma_f32_16x16x32_fp8_fp8 v[12:15], a[158:159], a[70:71], v[12:15]// 00000000402C: D3F3000C 1C328D9E
	v_fma_f32 v120, v8, v4, v120                               // 000000004034: D1CB0078 05E20908
	v_fma_f32 v121, v9, v4, v121                               // 00000000403C: D1CB0079 05E60909
	v_fma_f32 v122, v10, v4, v122                              // 000000004044: D1CB007A 05EA090A
	v_fma_f32 v123, v11, v4, v123                              // 00000000404C: D1CB007B 05EE090B
	v_fma_f32 v156, v12, v4, v156                              // 000000004054: D1CB009C 0672090C
	v_fma_f32 v157, v13, v4, v157                              // 00000000405C: D1CB009D 0676090D
	v_fma_f32 v158, v14, v4, v158                              // 000000004064: D1CB009E 067A090E
	v_fma_f32 v159, v15, v4, v159                              // 00000000406C: D1CB009F 067E090F
	s_waitcnt vmcnt(32)                                        // 000000004074: BF8C8F70
	s_barrier                                                  // 000000004078: BF8A0000
	v_mul_f32_dpp v4, v27, v39 row_newbcast:0 row_mask:0xf bank_mask:0xf// 00000000407C: 0A084EFA FF01501B
	v_mfma_f32_16x16x32_fp8_fp8 v[8:11], a[160:161], a[0:1], 0 // 000000004084: D3F30008 1A0201A0
	buffer_load_dword v28, v23, s[32:35], 0 offen              // 00000000408C: E0501000 80081C17
	v_mfma_f32_16x16x32_fp8_fp8 v[8:11], a[162:163], a[2:3], v[8:11]// 000000004094: D3F30008 1C2205A2
	buffer_load_dwordx4 a[144:147], v84, s[84:87], 0 offen     // 00000000409C: E05C1000 80959054
	v_mfma_f32_16x16x32_fp8_fp8 v[8:11], a[164:165], a[4:5], v[8:11]// 0000000040A4: D3F30008 1C2209A4
	v_mfma_f32_16x16x32_fp8_fp8 v[8:11], a[166:167], a[6:7], v[8:11]// 0000000040AC: D3F30008 1C220DA6
	ds_read_b128 a[72:75], v2 offset:18560                     // 0000000040B4: DBFE4880 48000002
	ds_read_b128 a[76:79], v2 offset:18624                     // 0000000040BC: DBFE48C0 4C000002
	v_mfma_f32_16x16x32_fp8_fp8 v[12:15], a[168:169], a[0:1], 0// 0000000040C4: D3F3000C 1A0201A8
	v_mfma_f32_16x16x32_fp8_fp8 v[12:15], a[170:171], a[2:3], v[12:15]// 0000000040CC: D3F3000C 1C3205AA
	buffer_load_dwordx4 a[148:151], v84, s[84:87], 0 offen offset:1024// 0000000040D4: E05C1400 80959454
	v_mfma_f32_16x16x32_fp8_fp8 v[12:15], a[172:173], a[4:5], v[12:15]// 0000000040DC: D3F3000C 1C3209AC
	v_mfma_f32_16x16x32_fp8_fp8 v[12:15], a[174:175], a[6:7], v[12:15]// 0000000040E4: D3F3000C 1C320DAE
	ds_read_b128 a[80:83], v2 offset:19072                     // 0000000040EC: DBFE4A80 50000002
	ds_read_b128 a[84:87], v2 offset:19136                     // 0000000040F4: DBFE4AC0 54000002
	v_fma_f32 v160, v8, v4, v160                               // 0000000040FC: D1CB00A0 06820908
	v_fma_f32 v161, v9, v4, v161                               // 000000004104: D1CB00A1 06860909
	v_fma_f32 v162, v10, v4, v162                              // 00000000410C: D1CB00A2 068A090A
	v_fma_f32 v163, v11, v4, v163                              // 000000004114: D1CB00A3 068E090B
	v_mul_f32_dpp v6, v27, v40 row_newbcast:0 row_mask:0xf bank_mask:0xf// 00000000411C: 0A0C50FA FF01501B
	v_mfma_f32_16x16x32_fp8_fp8 v[8:11], a[160:161], a[8:9], 0 // 000000004124: D3F30008 1A0211A0
	v_mfma_f32_16x16x32_fp8_fp8 v[8:11], a[162:163], a[10:11], v[8:11]// 00000000412C: D3F30008 1C2215A2
	buffer_load_dwordx4 a[152:155], v85, s[84:87], 0 offen     // 000000004134: E05C1000 80959855
	v_mfma_f32_16x16x32_fp8_fp8 v[8:11], a[164:165], a[12:13], v[8:11]// 00000000413C: D3F30008 1C2219A4
	v_mfma_f32_16x16x32_fp8_fp8 v[8:11], a[166:167], a[14:15], v[8:11]// 000000004144: D3F30008 1C221DA6
	ds_read_b128 a[88:91], v2 offset:19584                     // 00000000414C: DBFE4C80 58000002
	ds_read_b128 a[92:95], v2 offset:19648                     // 000000004154: DBFE4CC0 5C000002
	v_fma_f32 v196, v12, v4, v196                              // 00000000415C: D1CB00C4 0712090C
	v_fma_f32 v197, v13, v4, v197                              // 000000004164: D1CB00C5 0716090D
	v_fma_f32 v198, v14, v4, v198                              // 00000000416C: D1CB00C6 071A090E
	v_fma_f32 v199, v15, v4, v199                              // 000000004174: D1CB00C7 071E090F
	v_mfma_f32_16x16x32_fp8_fp8 v[12:15], a[168:169], a[8:9], 0// 00000000417C: D3F3000C 1A0211A8
	v_mfma_f32_16x16x32_fp8_fp8 v[12:15], a[170:171], a[10:11], v[12:15]// 000000004184: D3F3000C 1C3215AA
	buffer_load_dwordx4 a[156:159], v85, s[84:87], 0 offen offset:1024// 00000000418C: E05C1400 80959C55
	v_mfma_f32_16x16x32_fp8_fp8 v[12:15], a[172:173], a[12:13], v[12:15]// 000000004194: D3F3000C 1C3219AC
	v_mfma_f32_16x16x32_fp8_fp8 v[12:15], a[174:175], a[14:15], v[12:15]// 00000000419C: D3F3000C 1C321DAE
	ds_read_b128 a[96:99], v2 offset:20096                     // 0000000041A4: DBFE4E80 60000002
	ds_read_b128 a[100:103], v2 offset:20160                   // 0000000041AC: DBFE4EC0 64000002
	v_fma_f32 v164, v8, v6, v164                               // 0000000041B4: D1CB00A4 06920D08
	v_fma_f32 v165, v9, v6, v165                               // 0000000041BC: D1CB00A5 06960D09
	v_fma_f32 v166, v10, v6, v166                              // 0000000041C4: D1CB00A6 069A0D0A
	v_fma_f32 v167, v11, v6, v167                              // 0000000041CC: D1CB00A7 069E0D0B
	v_mul_f32_dpp v4, v27, v41 row_newbcast:0 row_mask:0xf bank_mask:0xf// 0000000041D4: 0A0852FA FF01501B
	v_mfma_f32_16x16x32_fp8_fp8 v[8:11], a[160:161], a[16:17], 0// 0000000041DC: D3F30008 1A0221A0
	v_mfma_f32_16x16x32_fp8_fp8 v[8:11], a[162:163], a[18:19], v[8:11]// 0000000041E4: D3F30008 1C2225A2
	v_mfma_f32_16x16x32_fp8_fp8 v[8:11], a[164:165], a[20:21], v[8:11]// 0000000041EC: D3F30008 1C2229A4
	v_mfma_f32_16x16x32_fp8_fp8 v[8:11], a[166:167], a[22:23], v[8:11]// 0000000041F4: D3F30008 1C222DA6
	ds_read_b128 a[104:107], v2 offset:20608                   // 0000000041FC: DBFE5080 68000002
	ds_read_b128 a[108:111], v2 offset:20672                   // 000000004204: DBFE50C0 6C000002
	v_fma_f32 v200, v12, v6, v200                              // 00000000420C: D1CB00C8 07220D0C
	v_fma_f32 v201, v13, v6, v201                              // 000000004214: D1CB00C9 07260D0D
	v_fma_f32 v202, v14, v6, v202                              // 00000000421C: D1CB00CA 072A0D0E
	v_fma_f32 v203, v15, v6, v203                              // 000000004224: D1CB00CB 072E0D0F
	v_mfma_f32_16x16x32_fp8_fp8 v[12:15], a[168:169], a[16:17], 0// 00000000422C: D3F3000C 1A0221A8
	v_mfma_f32_16x16x32_fp8_fp8 v[12:15], a[170:171], a[18:19], v[12:15]// 000000004234: D3F3000C 1C3225AA
	v_mfma_f32_16x16x32_fp8_fp8 v[12:15], a[172:173], a[20:21], v[12:15]// 00000000423C: D3F3000C 1C3229AC
	v_mfma_f32_16x16x32_fp8_fp8 v[12:15], a[174:175], a[22:23], v[12:15]// 000000004244: D3F3000C 1C322DAE
	ds_read_b128 a[112:115], v2 offset:21120                   // 00000000424C: DBFE5280 70000002
	ds_read_b128 a[116:119], v2 offset:21184                   // 000000004254: DBFE52C0 74000002
	v_fma_f32 v168, v8, v4, v168                               // 00000000425C: D1CB00A8 06A20908
	v_fma_f32 v169, v9, v4, v169                               // 000000004264: D1CB00A9 06A60909
	v_fma_f32 v170, v10, v4, v170                              // 00000000426C: D1CB00AA 06AA090A
	v_fma_f32 v171, v11, v4, v171                              // 000000004274: D1CB00AB 06AE090B
	v_mul_f32_dpp v6, v27, v42 row_newbcast:0 row_mask:0xf bank_mask:0xf// 00000000427C: 0A0C54FA FF01501B
	v_mfma_f32_16x16x32_fp8_fp8 v[8:11], a[160:161], a[24:25], 0// 000000004284: D3F30008 1A0231A0
	v_mfma_f32_16x16x32_fp8_fp8 v[8:11], a[162:163], a[26:27], v[8:11]// 00000000428C: D3F30008 1C2235A2
	v_mfma_f32_16x16x32_fp8_fp8 v[8:11], a[164:165], a[28:29], v[8:11]// 000000004294: D3F30008 1C2239A4
	v_mfma_f32_16x16x32_fp8_fp8 v[8:11], a[166:167], a[30:31], v[8:11]// 00000000429C: D3F30008 1C223DA6
	ds_read_b128 a[120:123], v2 offset:21632                   // 0000000042A4: DBFE5480 78000002
	ds_read_b128 a[124:127], v2 offset:21696                   // 0000000042AC: DBFE54C0 7C000002
	v_fma_f32 v204, v12, v4, v204                              // 0000000042B4: D1CB00CC 0732090C
	v_fma_f32 v205, v13, v4, v205                              // 0000000042BC: D1CB00CD 0736090D
	v_fma_f32 v206, v14, v4, v206                              // 0000000042C4: D1CB00CE 073A090E
	v_fma_f32 v207, v15, v4, v207                              // 0000000042CC: D1CB00CF 073E090F
	v_mfma_f32_16x16x32_fp8_fp8 v[12:15], a[168:169], a[24:25], 0// 0000000042D4: D3F3000C 1A0231A8
	v_mfma_f32_16x16x32_fp8_fp8 v[12:15], a[170:171], a[26:27], v[12:15]// 0000000042DC: D3F3000C 1C3235AA
	v_mfma_f32_16x16x32_fp8_fp8 v[12:15], a[172:173], a[28:29], v[12:15]// 0000000042E4: D3F3000C 1C3239AC
	v_mfma_f32_16x16x32_fp8_fp8 v[12:15], a[174:175], a[30:31], v[12:15]// 0000000042EC: D3F3000C 1C323DAE
	ds_read_b128 a[128:131], v2 offset:22144                   // 0000000042F4: DBFE5680 80000002
	ds_read_b128 a[132:135], v2 offset:22208                   // 0000000042FC: DBFE56C0 84000002
	v_fma_f32 v172, v8, v6, v172                               // 000000004304: D1CB00AC 06B20D08
	v_fma_f32 v173, v9, v6, v173                               // 00000000430C: D1CB00AD 06B60D09
	v_fma_f32 v174, v10, v6, v174                              // 000000004314: D1CB00AE 06BA0D0A
	v_fma_f32 v175, v11, v6, v175                              // 00000000431C: D1CB00AF 06BE0D0B
	v_mul_f32_dpp v4, v27, v43 row_newbcast:0 row_mask:0xf bank_mask:0xf// 000000004324: 0A0856FA FF01501B
	v_mfma_f32_16x16x32_fp8_fp8 v[8:11], a[160:161], a[32:33], 0// 00000000432C: D3F30008 1A0241A0
	v_mfma_f32_16x16x32_fp8_fp8 v[8:11], a[162:163], a[34:35], v[8:11]// 000000004334: D3F30008 1C2245A2
	v_mfma_f32_16x16x32_fp8_fp8 v[8:11], a[164:165], a[36:37], v[8:11]// 00000000433C: D3F30008 1C2249A4
	v_mfma_f32_16x16x32_fp8_fp8 v[8:11], a[166:167], a[38:39], v[8:11]// 000000004344: D3F30008 1C224DA6
	ds_read_b128 a[136:139], v2 offset:22656                   // 00000000434C: DBFE5880 88000002
	ds_read_b128 a[140:143], v2 offset:22720                   // 000000004354: DBFE58C0 8C000002
	v_fma_f32 v208, v12, v6, v208                              // 00000000435C: D1CB00D0 07420D0C
	v_fma_f32 v209, v13, v6, v209                              // 000000004364: D1CB00D1 07460D0D
	v_fma_f32 v210, v14, v6, v210                              // 00000000436C: D1CB00D2 074A0D0E
	v_fma_f32 v211, v15, v6, v211                              // 000000004374: D1CB00D3 074E0D0F
	v_mfma_f32_16x16x32_fp8_fp8 v[12:15], a[168:169], a[32:33], 0// 00000000437C: D3F3000C 1A0241A8
	v_mfma_f32_16x16x32_fp8_fp8 v[12:15], a[170:171], a[34:35], v[12:15]// 000000004384: D3F3000C 1C3245AA
	v_mfma_f32_16x16x32_fp8_fp8 v[12:15], a[172:173], a[36:37], v[12:15]// 00000000438C: D3F3000C 1C3249AC
	v_mfma_f32_16x16x32_fp8_fp8 v[12:15], a[174:175], a[38:39], v[12:15]// 000000004394: D3F3000C 1C324DAE
	v_fma_f32 v176, v8, v4, v176                               // 00000000439C: D1CB00B0 06C20908
	v_fma_f32 v177, v9, v4, v177                               // 0000000043A4: D1CB00B1 06C60909
	v_fma_f32 v178, v10, v4, v178                              // 0000000043AC: D1CB00B2 06CA090A
	v_fma_f32 v179, v11, v4, v179                              // 0000000043B4: D1CB00B3 06CE090B
	v_mul_f32_dpp v6, v27, v44 row_newbcast:0 row_mask:0xf bank_mask:0xf// 0000000043BC: 0A0C58FA FF01501B
	v_mfma_f32_16x16x32_fp8_fp8 v[8:11], a[160:161], a[40:41], 0// 0000000043C4: D3F30008 1A0251A0
	v_mfma_f32_16x16x32_fp8_fp8 v[8:11], a[162:163], a[42:43], v[8:11]// 0000000043CC: D3F30008 1C2255A2
	v_mfma_f32_16x16x32_fp8_fp8 v[8:11], a[164:165], a[44:45], v[8:11]// 0000000043D4: D3F30008 1C2259A4
	v_mfma_f32_16x16x32_fp8_fp8 v[8:11], a[166:167], a[46:47], v[8:11]// 0000000043DC: D3F30008 1C225DA6
	v_fma_f32 v212, v12, v4, v212                              // 0000000043E4: D1CB00D4 0752090C
	v_fma_f32 v213, v13, v4, v213                              // 0000000043EC: D1CB00D5 0756090D
	v_fma_f32 v214, v14, v4, v214                              // 0000000043F4: D1CB00D6 075A090E
	v_fma_f32 v215, v15, v4, v215                              // 0000000043FC: D1CB00D7 075E090F
	v_mfma_f32_16x16x32_fp8_fp8 v[12:15], a[168:169], a[40:41], 0// 000000004404: D3F3000C 1A0251A8
	v_mfma_f32_16x16x32_fp8_fp8 v[12:15], a[170:171], a[42:43], v[12:15]// 00000000440C: D3F3000C 1C3255AA
	v_mfma_f32_16x16x32_fp8_fp8 v[12:15], a[172:173], a[44:45], v[12:15]// 000000004414: D3F3000C 1C3259AC
	v_mfma_f32_16x16x32_fp8_fp8 v[12:15], a[174:175], a[46:47], v[12:15]// 00000000441C: D3F3000C 1C325DAE
	v_fma_f32 v180, v8, v6, v180                               // 000000004424: D1CB00B4 06D20D08
	v_fma_f32 v181, v9, v6, v181                               // 00000000442C: D1CB00B5 06D60D09
	v_fma_f32 v182, v10, v6, v182                              // 000000004434: D1CB00B6 06DA0D0A
	v_fma_f32 v183, v11, v6, v183                              // 00000000443C: D1CB00B7 06DE0D0B
	v_mul_f32_dpp v4, v27, v45 row_newbcast:0 row_mask:0xf bank_mask:0xf// 000000004444: 0A085AFA FF01501B
	v_mfma_f32_16x16x32_fp8_fp8 v[8:11], a[160:161], a[48:49], 0// 00000000444C: D3F30008 1A0261A0
	v_mfma_f32_16x16x32_fp8_fp8 v[8:11], a[162:163], a[50:51], v[8:11]// 000000004454: D3F30008 1C2265A2
	v_mfma_f32_16x16x32_fp8_fp8 v[8:11], a[164:165], a[52:53], v[8:11]// 00000000445C: D3F30008 1C2269A4
	v_mfma_f32_16x16x32_fp8_fp8 v[8:11], a[166:167], a[54:55], v[8:11]// 000000004464: D3F30008 1C226DA6
	v_fma_f32 v216, v12, v6, v216                              // 00000000446C: D1CB00D8 07620D0C
	v_fma_f32 v217, v13, v6, v217                              // 000000004474: D1CB00D9 07660D0D
	v_fma_f32 v218, v14, v6, v218                              // 00000000447C: D1CB00DA 076A0D0E
	v_fma_f32 v219, v15, v6, v219                              // 000000004484: D1CB00DB 076E0D0F
	v_mfma_f32_16x16x32_fp8_fp8 v[12:15], a[168:169], a[48:49], 0// 00000000448C: D3F3000C 1A0261A8
	v_mfma_f32_16x16x32_fp8_fp8 v[12:15], a[170:171], a[50:51], v[12:15]// 000000004494: D3F3000C 1C3265AA
	v_mfma_f32_16x16x32_fp8_fp8 v[12:15], a[172:173], a[52:53], v[12:15]// 00000000449C: D3F3000C 1C3269AC
	v_mfma_f32_16x16x32_fp8_fp8 v[12:15], a[174:175], a[54:55], v[12:15]// 0000000044A4: D3F3000C 1C326DAE
	v_fma_f32 v184, v8, v4, v184                               // 0000000044AC: D1CB00B8 06E20908
	v_fma_f32 v185, v9, v4, v185                               // 0000000044B4: D1CB00B9 06E60909
	v_fma_f32 v186, v10, v4, v186                              // 0000000044BC: D1CB00BA 06EA090A
	v_fma_f32 v187, v11, v4, v187                              // 0000000044C4: D1CB00BB 06EE090B
	v_mul_f32_dpp v6, v27, v46 row_newbcast:0 row_mask:0xf bank_mask:0xf// 0000000044CC: 0A0C5CFA FF01501B
	v_mfma_f32_16x16x32_fp8_fp8 v[8:11], a[160:161], a[56:57], 0// 0000000044D4: D3F30008 1A0271A0
	v_mfma_f32_16x16x32_fp8_fp8 v[8:11], a[162:163], a[58:59], v[8:11]// 0000000044DC: D3F30008 1C2275A2
	v_mfma_f32_16x16x32_fp8_fp8 v[8:11], a[164:165], a[60:61], v[8:11]// 0000000044E4: D3F30008 1C2279A4
	v_mfma_f32_16x16x32_fp8_fp8 v[8:11], a[166:167], a[62:63], v[8:11]// 0000000044EC: D3F30008 1C227DA6
	v_fma_f32 v220, v12, v4, v220                              // 0000000044F4: D1CB00DC 0772090C
	v_fma_f32 v221, v13, v4, v221                              // 0000000044FC: D1CB00DD 0776090D
	v_fma_f32 v222, v14, v4, v222                              // 000000004504: D1CB00DE 077A090E
	v_fma_f32 v223, v15, v4, v223                              // 00000000450C: D1CB00DF 077E090F
	v_mfma_f32_16x16x32_fp8_fp8 v[12:15], a[168:169], a[56:57], 0// 000000004514: D3F3000C 1A0271A8
	v_mfma_f32_16x16x32_fp8_fp8 v[12:15], a[170:171], a[58:59], v[12:15]// 00000000451C: D3F3000C 1C3275AA
	v_mfma_f32_16x16x32_fp8_fp8 v[12:15], a[172:173], a[60:61], v[12:15]// 000000004524: D3F3000C 1C3279AC
	v_mfma_f32_16x16x32_fp8_fp8 v[12:15], a[174:175], a[62:63], v[12:15]// 00000000452C: D3F3000C 1C327DAE
	v_fma_f32 v188, v8, v6, v188                               // 000000004534: D1CB00BC 06F20D08
	v_fma_f32 v189, v9, v6, v189                               // 00000000453C: D1CB00BD 06F60D09
	v_fma_f32 v190, v10, v6, v190                              // 000000004544: D1CB00BE 06FA0D0A
	v_fma_f32 v191, v11, v6, v191                              // 00000000454C: D1CB00BF 06FE0D0B
	v_mul_f32_dpp v4, v27, v47 row_newbcast:0 row_mask:0xf bank_mask:0xf// 000000004554: 0A085EFA FF01501B
	v_mfma_f32_16x16x32_fp8_fp8 v[8:11], a[160:161], a[64:65], 0// 00000000455C: D3F30008 1A0281A0
	s_add_u32 s60, 0x180, s80                                  // 000000004564: 803C50FF 00000180
	s_cmp_lt_u32 s60, s81                                      // 00000000456C: BF0A513C
	s_cselect_b32 s57, s57, 0                                  // 000000004570: 85398039
	s_cselect_b32 s3, s3, 0                                    // 000000004574: 85038003
	v_mfma_f32_16x16x32_fp8_fp8 v[8:11], a[162:163], a[66:67], v[8:11]// 000000004578: D3F30008 1C2285A2
	s_add_u32 s60, 0x100, s80                                  // 000000004580: 803C50FF 00000100
	s_cmp_lt_u32 s60, s81                                      // 000000004588: BF0A513C
	s_cselect_b32 s58, s58, 0                                  // 00000000458C: 853A803A
	v_mfma_f32_16x16x32_fp8_fp8 v[8:11], a[164:165], a[68:69], v[8:11]// 000000004590: D3F30008 1C2289A4
	s_add_u32 s60, 0x100, s80                                  // 000000004598: 803C50FF 00000100
	s_cmp_lt_u32 s60, s81                                      // 0000000045A0: BF0A513C
	s_cselect_b32 s83, s83, 0                                  // 0000000045A4: 85538053
	s_cselect_b32 s4, s4, 0                                    // 0000000045A8: 85048004
	v_mfma_f32_16x16x32_fp8_fp8 v[8:11], a[166:167], a[70:71], v[8:11]// 0000000045AC: D3F30008 1C228DA6
	s_add_u32 s24, s58, s24                                    // 0000000045B4: 8018183A
	s_addc_u32 s25, 0, s25                                     // 0000000045B8: 82191980
	v_fma_f32 v224, v12, v6, v224                              // 0000000045BC: D1CB00E0 07820D0C
	v_fma_f32 v225, v13, v6, v225                              // 0000000045C4: D1CB00E1 07860D0D
	v_fma_f32 v226, v14, v6, v226                              // 0000000045CC: D1CB00E2 078A0D0E
	v_fma_f32 v227, v15, v6, v227                              // 0000000045D4: D1CB00E3 078E0D0F
	v_mfma_f32_16x16x32_fp8_fp8 v[12:15], a[168:169], a[64:65], 0// 0000000045DC: D3F3000C 1A0281A8
	s_add_u32 s20, s57, s20                                    // 0000000045E4: 80141439
	s_addc_u32 s21, 0, s21                                     // 0000000045E8: 82151580
	s_add_u32 s28, s3, s28                                     // 0000000045EC: 801C1C03
	s_addc_u32 s29, 0, s29                                     // 0000000045F0: 821D1D80
	v_mfma_f32_16x16x32_fp8_fp8 v[12:15], a[170:171], a[66:67], v[12:15]// 0000000045F4: D3F3000C 1C3285AA
	s_add_u32 s84, s83, s84                                    // 0000000045FC: 80545453
	s_addc_u32 s85, 0, s85                                     // 000000004600: 82555580
	v_mfma_f32_16x16x32_fp8_fp8 v[12:15], a[172:173], a[68:69], v[12:15]// 000000004604: D3F3000C 1C3289AC
	s_add_u32 s32, s4, s32                                     // 00000000460C: 80202004
	s_addc_u32 s33, 0, s33                                     // 000000004610: 82212180
	v_mfma_f32_16x16x32_fp8_fp8 v[12:15], a[174:175], a[70:71], v[12:15]// 000000004614: D3F3000C 1C328DAE
	v_fma_f32 v192, v8, v4, v192                               // 00000000461C: D1CB00C0 07020908
	v_fma_f32 v193, v9, v4, v193                               // 000000004624: D1CB00C1 07060909
	v_fma_f32 v194, v10, v4, v194                              // 00000000462C: D1CB00C2 070A090A
	v_fma_f32 v195, v11, v4, v195                              // 000000004634: D1CB00C3 070E090B
	v_fma_f32 v228, v12, v4, v228                              // 00000000463C: D1CB00E4 0792090C
	v_fma_f32 v229, v13, v4, v229                              // 000000004644: D1CB00E5 0796090D
	v_fma_f32 v230, v14, v4, v230                              // 00000000464C: D1CB00E6 079A090E
	v_fma_f32 v231, v15, v4, v231                              // 000000004654: D1CB00E7 079E090F
	s_addk_i32 s80, 0x80                                       // 00000000465C: B7500080
	s_cmp_lt_i32 s80, s81                                      // 000000004660: BF045150
	s_cbranch_scc0 label_167A                                  // 000000004664: BF840F60
	s_waitcnt vmcnt(32) lgkmcnt(0)                             // 000000004668: BF8C8070
	v_mul_f32_dpp v4, v25, v48 row_newbcast:0 row_mask:0xf bank_mask:0xf// 00000000466C: 0A0860FA FF015019
	v_mfma_f32_16x16x32_fp8_fp8 v[8:11], a[176:177], a[72:73], 0// 000000004674: D3F30008 1A0291B0
	buffer_load_dword v26, v22, s[32:35], 0 offen              // 00000000467C: E0501000 80081A16
	v_mfma_f32_16x16x32_fp8_fp8 v[8:11], a[178:179], a[74:75], v[8:11]// 000000004684: D3F30008 1C2295B2
	buffer_load_dwordx4 a[160:163], v84, s[24:27], 0 offen     // 00000000468C: E05C1000 8086A054
	v_mfma_f32_16x16x32_fp8_fp8 v[8:11], a[180:181], a[76:77], v[8:11]// 000000004694: D3F30008 1C2299B4
	v_mfma_f32_16x16x32_fp8_fp8 v[8:11], a[182:183], a[78:79], v[8:11]// 00000000469C: D3F30008 1C229DB6
	v_mfma_f32_16x16x32_fp8_fp8 v[12:15], a[184:185], a[72:73], 0// 0000000046A4: D3F3000C 1A0291B8
	v_mfma_f32_16x16x32_fp8_fp8 v[12:15], a[186:187], a[74:75], v[12:15]// 0000000046AC: D3F3000C 1C3295BA
	buffer_load_dwordx4 a[164:167], v84, s[24:27], 0 offen offset:1024// 0000000046B4: E05C1400 8086A454
	v_mfma_f32_16x16x32_fp8_fp8 v[12:15], a[188:189], a[76:77], v[12:15]// 0000000046BC: D3F3000C 1C3299BC
	v_mfma_f32_16x16x32_fp8_fp8 v[12:15], a[190:191], a[78:79], v[12:15]// 0000000046C4: D3F3000C 1C329DBE
	v_fma_f32 v88, v8, v4, v88                                 // 0000000046CC: D1CB0058 05620908
	v_fma_f32 v89, v9, v4, v89                                 // 0000000046D4: D1CB0059 05660909
	v_fma_f32 v90, v10, v4, v90                                // 0000000046DC: D1CB005A 056A090A
	v_fma_f32 v91, v11, v4, v91                                // 0000000046E4: D1CB005B 056E090B
	v_mul_f32_dpp v6, v25, v49 row_newbcast:0 row_mask:0xf bank_mask:0xf// 0000000046EC: 0A0C62FA FF015019
	v_mfma_f32_16x16x32_fp8_fp8 v[8:11], a[176:177], a[80:81], 0// 0000000046F4: D3F30008 1A02A1B0
	v_mfma_f32_16x16x32_fp8_fp8 v[8:11], a[178:179], a[82:83], v[8:11]// 0000000046FC: D3F30008 1C22A5B2
	buffer_load_dwordx4 a[168:171], v85, s[24:27], 0 offen     // 000000004704: E05C1000 8086A855
	v_mfma_f32_16x16x32_fp8_fp8 v[8:11], a[180:181], a[84:85], v[8:11]// 00000000470C: D3F30008 1C22A9B4
	v_mfma_f32_16x16x32_fp8_fp8 v[8:11], a[182:183], a[86:87], v[8:11]// 000000004714: D3F30008 1C22ADB6
	v_fma_f32 v124, v12, v4, v124                              // 00000000471C: D1CB007C 05F2090C
	v_fma_f32 v125, v13, v4, v125                              // 000000004724: D1CB007D 05F6090D
	v_fma_f32 v126, v14, v4, v126                              // 00000000472C: D1CB007E 05FA090E
	v_fma_f32 v127, v15, v4, v127                              // 000000004734: D1CB007F 05FE090F
	v_mfma_f32_16x16x32_fp8_fp8 v[12:15], a[184:185], a[80:81], 0// 00000000473C: D3F3000C 1A02A1B8
	v_mfma_f32_16x16x32_fp8_fp8 v[12:15], a[186:187], a[82:83], v[12:15]// 000000004744: D3F3000C 1C32A5BA
	buffer_load_dwordx4 a[172:175], v85, s[24:27], 0 offen offset:1024// 00000000474C: E05C1400 8086AC55
	buffer_load_dword v66, s[20:23], 0 offen lds               // 000000004754: E0511000 80050042
	s_add_u32 m0, 0x100, s48                                   // 00000000475C: 807C30FF 00000100
	v_mfma_f32_16x16x32_fp8_fp8 v[12:15], a[188:189], a[84:85], v[12:15]// 000000004764: D3F3000C 1C32A9BC
	v_mfma_f32_16x16x32_fp8_fp8 v[12:15], a[190:191], a[86:87], v[12:15]// 00000000476C: D3F3000C 1C32ADBE
	buffer_load_dword v67, s[20:23], 0 offen lds               // 000000004774: E0511000 80050043
	s_add_u32 m0, 0x200, s48                                   // 00000000477C: 807C30FF 00000200
	v_fma_f32 v92, v8, v6, v92                                 // 000000004784: D1CB005C 05720D08
	v_fma_f32 v93, v9, v6, v93                                 // 00000000478C: D1CB005D 05760D09
	v_fma_f32 v94, v10, v6, v94                                // 000000004794: D1CB005E 057A0D0A
	v_fma_f32 v95, v11, v6, v95                                // 00000000479C: D1CB005F 057E0D0B
	v_mul_f32_dpp v4, v25, v50 row_newbcast:0 row_mask:0xf bank_mask:0xf// 0000000047A4: 0A0864FA FF015019
	v_mfma_f32_16x16x32_fp8_fp8 v[8:11], a[176:177], a[88:89], 0// 0000000047AC: D3F30008 1A02B1B0
	v_mfma_f32_16x16x32_fp8_fp8 v[8:11], a[178:179], a[90:91], v[8:11]// 0000000047B4: D3F30008 1C22B5B2
	buffer_load_dword v68, s[20:23], 0 offen lds               // 0000000047BC: E0511000 80050044
	s_add_u32 m0, 0x300, s48                                   // 0000000047C4: 807C30FF 00000300
	v_mfma_f32_16x16x32_fp8_fp8 v[8:11], a[180:181], a[92:93], v[8:11]// 0000000047CC: D3F30008 1C22B9B4
	v_mfma_f32_16x16x32_fp8_fp8 v[8:11], a[182:183], a[94:95], v[8:11]// 0000000047D4: D3F30008 1C22BDB6
	buffer_load_dword v69, s[20:23], 0 offen lds               // 0000000047DC: E0511000 80050045
	s_add_u32 m0, 0x400, s48                                   // 0000000047E4: 807C30FF 00000400
	v_fma_f32 v128, v12, v6, v128                              // 0000000047EC: D1CB0080 06020D0C
	v_fma_f32 v129, v13, v6, v129                              // 0000000047F4: D1CB0081 06060D0D
	v_fma_f32 v130, v14, v6, v130                              // 0000000047FC: D1CB0082 060A0D0E
	v_fma_f32 v131, v15, v6, v131                              // 000000004804: D1CB0083 060E0D0F
	v_mfma_f32_16x16x32_fp8_fp8 v[12:15], a[184:185], a[88:89], 0// 00000000480C: D3F3000C 1A02B1B8
	v_mfma_f32_16x16x32_fp8_fp8 v[12:15], a[186:187], a[90:91], v[12:15]// 000000004814: D3F3000C 1C32B5BA
	buffer_load_dword v70, s[20:23], 0 offen lds               // 00000000481C: E0511000 80050046
	s_add_u32 m0, 0x500, s48                                   // 000000004824: 807C30FF 00000500
	v_mfma_f32_16x16x32_fp8_fp8 v[12:15], a[188:189], a[92:93], v[12:15]// 00000000482C: D3F3000C 1C32B9BC
	v_mfma_f32_16x16x32_fp8_fp8 v[12:15], a[190:191], a[94:95], v[12:15]// 000000004834: D3F3000C 1C32BDBE
	buffer_load_dword v71, s[20:23], 0 offen lds               // 00000000483C: E0511000 80050047
	s_add_u32 m0, 0x600, s48                                   // 000000004844: 807C30FF 00000600
	v_fma_f32 v96, v8, v4, v96                                 // 00000000484C: D1CB0060 05820908
	v_fma_f32 v97, v9, v4, v97                                 // 000000004854: D1CB0061 05860909
	v_fma_f32 v98, v10, v4, v98                                // 00000000485C: D1CB0062 058A090A
	v_fma_f32 v99, v11, v4, v99                                // 000000004864: D1CB0063 058E090B
	v_mul_f32_dpp v6, v25, v51 row_newbcast:0 row_mask:0xf bank_mask:0xf// 00000000486C: 0A0C66FA FF015019
	v_mfma_f32_16x16x32_fp8_fp8 v[8:11], a[176:177], a[96:97], 0// 000000004874: D3F30008 1A02C1B0
	v_mfma_f32_16x16x32_fp8_fp8 v[8:11], a[178:179], a[98:99], v[8:11]// 00000000487C: D3F30008 1C22C5B2
	buffer_load_dword v72, s[20:23], 0 offen lds               // 000000004884: E0511000 80050048
	s_add_u32 m0, 0x700, s48                                   // 00000000488C: 807C30FF 00000700
	v_mfma_f32_16x16x32_fp8_fp8 v[8:11], a[180:181], a[100:101], v[8:11]// 000000004894: D3F30008 1C22C9B4
	v_mfma_f32_16x16x32_fp8_fp8 v[8:11], a[182:183], a[102:103], v[8:11]// 00000000489C: D3F30008 1C22CDB6
	buffer_load_dword v73, s[20:23], 0 offen lds               // 0000000048A4: E0511000 80050049
	s_add_u32 m0, 0x800, s48                                   // 0000000048AC: 807C30FF 00000800
	v_fma_f32 v132, v12, v4, v132                              // 0000000048B4: D1CB0084 0612090C
	v_fma_f32 v133, v13, v4, v133                              // 0000000048BC: D1CB0085 0616090D
	v_fma_f32 v134, v14, v4, v134                              // 0000000048C4: D1CB0086 061A090E
	v_fma_f32 v135, v15, v4, v135                              // 0000000048CC: D1CB0087 061E090F
	v_mfma_f32_16x16x32_fp8_fp8 v[12:15], a[184:185], a[96:97], 0// 0000000048D4: D3F3000C 1A02C1B8
	v_mfma_f32_16x16x32_fp8_fp8 v[12:15], a[186:187], a[98:99], v[12:15]// 0000000048DC: D3F3000C 1C32C5BA
	buffer_load_dword v74, s[20:23], 0 offen lds               // 0000000048E4: E0511000 8005004A
	s_add_u32 m0, 0x900, s48                                   // 0000000048EC: 807C30FF 00000900
	v_mfma_f32_16x16x32_fp8_fp8 v[12:15], a[188:189], a[100:101], v[12:15]// 0000000048F4: D3F3000C 1C32C9BC
	v_mfma_f32_16x16x32_fp8_fp8 v[12:15], a[190:191], a[102:103], v[12:15]// 0000000048FC: D3F3000C 1C32CDBE
	buffer_load_dword v75, s[20:23], 0 offen lds               // 000000004904: E0511000 8005004B
	s_add_u32 m0, 0xa00, s48                                   // 00000000490C: 807C30FF 00000A00
	v_fma_f32 v100, v8, v6, v100                               // 000000004914: D1CB0064 05920D08
	v_fma_f32 v101, v9, v6, v101                               // 00000000491C: D1CB0065 05960D09
	v_fma_f32 v102, v10, v6, v102                              // 000000004924: D1CB0066 059A0D0A
	v_fma_f32 v103, v11, v6, v103                              // 00000000492C: D1CB0067 059E0D0B
	v_mul_f32_dpp v4, v25, v52 row_newbcast:0 row_mask:0xf bank_mask:0xf// 000000004934: 0A0868FA FF015019
	v_mfma_f32_16x16x32_fp8_fp8 v[8:11], a[176:177], a[104:105], 0// 00000000493C: D3F30008 1A02D1B0
	v_mfma_f32_16x16x32_fp8_fp8 v[8:11], a[178:179], a[106:107], v[8:11]// 000000004944: D3F30008 1C22D5B2
	buffer_load_dword v76, s[20:23], 0 offen lds               // 00000000494C: E0511000 8005004C
	s_add_u32 m0, 0xb00, s48                                   // 000000004954: 807C30FF 00000B00
	v_mfma_f32_16x16x32_fp8_fp8 v[8:11], a[180:181], a[108:109], v[8:11]// 00000000495C: D3F30008 1C22D9B4
	v_mfma_f32_16x16x32_fp8_fp8 v[8:11], a[182:183], a[110:111], v[8:11]// 000000004964: D3F30008 1C22DDB6
	buffer_load_dword v77, s[20:23], 0 offen lds               // 00000000496C: E0511000 8005004D
	s_add_u32 m0, 0xc00, s48                                   // 000000004974: 807C30FF 00000C00
	v_fma_f32 v136, v12, v6, v136                              // 00000000497C: D1CB0088 06220D0C
	v_fma_f32 v137, v13, v6, v137                              // 000000004984: D1CB0089 06260D0D
	v_fma_f32 v138, v14, v6, v138                              // 00000000498C: D1CB008A 062A0D0E
	v_fma_f32 v139, v15, v6, v139                              // 000000004994: D1CB008B 062E0D0F
	v_mfma_f32_16x16x32_fp8_fp8 v[12:15], a[184:185], a[104:105], 0// 00000000499C: D3F3000C 1A02D1B8
	v_mfma_f32_16x16x32_fp8_fp8 v[12:15], a[186:187], a[106:107], v[12:15]// 0000000049A4: D3F3000C 1C32D5BA
	buffer_load_dword v78, s[20:23], 0 offen lds               // 0000000049AC: E0511000 8005004E
	s_add_u32 m0, 0xd00, s48                                   // 0000000049B4: 807C30FF 00000D00
	v_mfma_f32_16x16x32_fp8_fp8 v[12:15], a[188:189], a[108:109], v[12:15]// 0000000049BC: D3F3000C 1C32D9BC
	v_mfma_f32_16x16x32_fp8_fp8 v[12:15], a[190:191], a[110:111], v[12:15]// 0000000049C4: D3F3000C 1C32DDBE
	buffer_load_dword v79, s[20:23], 0 offen lds               // 0000000049CC: E0511000 8005004F
	s_add_u32 m0, 0xe00, s48                                   // 0000000049D4: 807C30FF 00000E00
	v_fma_f32 v104, v8, v4, v104                               // 0000000049DC: D1CB0068 05A20908
	v_fma_f32 v105, v9, v4, v105                               // 0000000049E4: D1CB0069 05A60909
	v_fma_f32 v106, v10, v4, v106                              // 0000000049EC: D1CB006A 05AA090A
	v_fma_f32 v107, v11, v4, v107                              // 0000000049F4: D1CB006B 05AE090B
	v_mul_f32_dpp v6, v25, v53 row_newbcast:0 row_mask:0xf bank_mask:0xf// 0000000049FC: 0A0C6AFA FF015019
	v_mfma_f32_16x16x32_fp8_fp8 v[8:11], a[176:177], a[112:113], 0// 000000004A04: D3F30008 1A02E1B0
	v_mfma_f32_16x16x32_fp8_fp8 v[8:11], a[178:179], a[114:115], v[8:11]// 000000004A0C: D3F30008 1C22E5B2
	buffer_load_dword v80, s[20:23], 0 offen lds               // 000000004A14: E0511000 80050050
	s_add_u32 m0, 0xf00, s48                                   // 000000004A1C: 807C30FF 00000F00
	v_mfma_f32_16x16x32_fp8_fp8 v[8:11], a[180:181], a[116:117], v[8:11]// 000000004A24: D3F30008 1C22E9B4
	v_mfma_f32_16x16x32_fp8_fp8 v[8:11], a[182:183], a[118:119], v[8:11]// 000000004A2C: D3F30008 1C22EDB6
	buffer_load_dword v81, s[20:23], 0 offen lds               // 000000004A34: E0511000 80050051
	s_add_u32 m0, 0x1000, s48                                  // 000000004A3C: 807C30FF 00001000
	v_fma_f32 v140, v12, v4, v140                              // 000000004A44: D1CB008C 0632090C
	v_fma_f32 v141, v13, v4, v141                              // 000000004A4C: D1CB008D 0636090D
	v_fma_f32 v142, v14, v4, v142                              // 000000004A54: D1CB008E 063A090E
	v_fma_f32 v143, v15, v4, v143                              // 000000004A5C: D1CB008F 063E090F
	v_mfma_f32_16x16x32_fp8_fp8 v[12:15], a[184:185], a[112:113], 0// 000000004A64: D3F3000C 1A02E1B8
	v_mfma_f32_16x16x32_fp8_fp8 v[12:15], a[186:187], a[114:115], v[12:15]// 000000004A6C: D3F3000C 1C32E5BA
	buffer_load_dword v82, s[20:23], 0 offen lds               // 000000004A74: E0511000 80050052
	s_add_u32 m0, 0x1100, s48                                  // 000000004A7C: 807C30FF 00001100
	v_mfma_f32_16x16x32_fp8_fp8 v[12:15], a[188:189], a[116:117], v[12:15]// 000000004A84: D3F3000C 1C32E9BC
	v_mfma_f32_16x16x32_fp8_fp8 v[12:15], a[190:191], a[118:119], v[12:15]// 000000004A8C: D3F3000C 1C32EDBE
	buffer_load_dword v83, s[20:23], 0 offen lds               // 000000004A94: E0511000 80050053
	s_add_u32 m0, 0, s49                                       // 000000004A9C: 807C3180
	v_fma_f32 v108, v8, v6, v108                               // 000000004AA0: D1CB006C 05B20D08
	v_fma_f32 v109, v9, v6, v109                               // 000000004AA8: D1CB006D 05B60D09
	v_fma_f32 v110, v10, v6, v110                              // 000000004AB0: D1CB006E 05BA0D0A
	v_fma_f32 v111, v11, v6, v111                              // 000000004AB8: D1CB006F 05BE0D0B
	v_mul_f32_dpp v4, v25, v54 row_newbcast:0 row_mask:0xf bank_mask:0xf// 000000004AC0: 0A086CFA FF015019
	v_mfma_f32_16x16x32_fp8_fp8 v[8:11], a[176:177], a[120:121], 0// 000000004AC8: D3F30008 1A02F1B0
	v_mfma_f32_16x16x32_fp8_fp8 v[8:11], a[178:179], a[122:123], v[8:11]// 000000004AD0: D3F30008 1C22F5B2
	buffer_load_dword v39, v30, s[28:31], 0 offen              // 000000004AD8: E0501000 8007271E
	v_mfma_f32_16x16x32_fp8_fp8 v[8:11], a[180:181], a[124:125], v[8:11]// 000000004AE0: D3F30008 1C22F9B4
	v_mfma_f32_16x16x32_fp8_fp8 v[8:11], a[182:183], a[126:127], v[8:11]// 000000004AE8: D3F30008 1C22FDB6
	buffer_load_dword v40, v31, s[28:31], 0 offen              // 000000004AF0: E0501000 8007281F
	v_fma_f32 v144, v12, v6, v144                              // 000000004AF8: D1CB0090 06420D0C
	v_fma_f32 v145, v13, v6, v145                              // 000000004B00: D1CB0091 06460D0D
	v_fma_f32 v146, v14, v6, v146                              // 000000004B08: D1CB0092 064A0D0E
	v_fma_f32 v147, v15, v6, v147                              // 000000004B10: D1CB0093 064E0D0F
	v_mfma_f32_16x16x32_fp8_fp8 v[12:15], a[184:185], a[120:121], 0// 000000004B18: D3F3000C 1A02F1B8
	v_mfma_f32_16x16x32_fp8_fp8 v[12:15], a[186:187], a[122:123], v[12:15]// 000000004B20: D3F3000C 1C32F5BA
	buffer_load_dword v41, v32, s[28:31], 0 offen              // 000000004B28: E0501000 80072920
	v_mfma_f32_16x16x32_fp8_fp8 v[12:15], a[188:189], a[124:125], v[12:15]// 000000004B30: D3F3000C 1C32F9BC
	v_mfma_f32_16x16x32_fp8_fp8 v[12:15], a[190:191], a[126:127], v[12:15]// 000000004B38: D3F3000C 1C32FDBE
	buffer_load_dword v42, v33, s[28:31], 0 offen              // 000000004B40: E0501000 80072A21
	v_fma_f32 v112, v8, v4, v112                               // 000000004B48: D1CB0070 05C20908
	v_fma_f32 v113, v9, v4, v113                               // 000000004B50: D1CB0071 05C60909
	v_fma_f32 v114, v10, v4, v114                              // 000000004B58: D1CB0072 05CA090A
	v_fma_f32 v115, v11, v4, v115                              // 000000004B60: D1CB0073 05CE090B
	v_mul_f32_dpp v6, v25, v55 row_newbcast:0 row_mask:0xf bank_mask:0xf// 000000004B68: 0A0C6EFA FF015019
	v_mfma_f32_16x16x32_fp8_fp8 v[8:11], a[176:177], a[128:129], 0// 000000004B70: D3F30008 1A0301B0
	v_mfma_f32_16x16x32_fp8_fp8 v[8:11], a[178:179], a[130:131], v[8:11]// 000000004B78: D3F30008 1C2305B2
	buffer_load_dword v43, v34, s[28:31], 0 offen              // 000000004B80: E0501000 80072B22
	v_mfma_f32_16x16x32_fp8_fp8 v[8:11], a[180:181], a[132:133], v[8:11]// 000000004B88: D3F30008 1C2309B4
	v_mfma_f32_16x16x32_fp8_fp8 v[8:11], a[182:183], a[134:135], v[8:11]// 000000004B90: D3F30008 1C230DB6
	buffer_load_dword v44, v35, s[28:31], 0 offen              // 000000004B98: E0501000 80072C23
	v_fma_f32 v148, v12, v4, v148                              // 000000004BA0: D1CB0094 0652090C
	v_fma_f32 v149, v13, v4, v149                              // 000000004BA8: D1CB0095 0656090D
	v_fma_f32 v150, v14, v4, v150                              // 000000004BB0: D1CB0096 065A090E
	v_fma_f32 v151, v15, v4, v151                              // 000000004BB8: D1CB0097 065E090F
	v_mfma_f32_16x16x32_fp8_fp8 v[12:15], a[184:185], a[128:129], 0// 000000004BC0: D3F3000C 1A0301B8
	v_mfma_f32_16x16x32_fp8_fp8 v[12:15], a[186:187], a[130:131], v[12:15]// 000000004BC8: D3F3000C 1C3305BA
	buffer_load_dword v45, v36, s[28:31], 0 offen              // 000000004BD0: E0501000 80072D24
	v_mfma_f32_16x16x32_fp8_fp8 v[12:15], a[188:189], a[132:133], v[12:15]// 000000004BD8: D3F3000C 1C3309BC
	v_mfma_f32_16x16x32_fp8_fp8 v[12:15], a[190:191], a[134:135], v[12:15]// 000000004BE0: D3F3000C 1C330DBE
	buffer_load_dword v46, v37, s[28:31], 0 offen              // 000000004BE8: E0501000 80072E25
	v_fma_f32 v116, v8, v6, v116                               // 000000004BF0: D1CB0074 05D20D08
	v_fma_f32 v117, v9, v6, v117                               // 000000004BF8: D1CB0075 05D60D09
	v_fma_f32 v118, v10, v6, v118                              // 000000004C00: D1CB0076 05DA0D0A
	v_fma_f32 v119, v11, v6, v119                              // 000000004C08: D1CB0077 05DE0D0B
	v_mul_f32_dpp v4, v25, v56 row_newbcast:0 row_mask:0xf bank_mask:0xf// 000000004C10: 0A0870FA FF015019
	v_mfma_f32_16x16x32_fp8_fp8 v[8:11], a[176:177], a[136:137], 0// 000000004C18: D3F30008 1A0311B0
	v_mfma_f32_16x16x32_fp8_fp8 v[8:11], a[178:179], a[138:139], v[8:11]// 000000004C20: D3F30008 1C2315B2
	buffer_load_dword v47, v38, s[28:31], 0 offen              // 000000004C28: E0501000 80072F26
	v_mfma_f32_16x16x32_fp8_fp8 v[8:11], a[180:181], a[140:141], v[8:11]// 000000004C30: D3F30008 1C2319B4
	v_mfma_f32_16x16x32_fp8_fp8 v[8:11], a[182:183], a[142:143], v[8:11]// 000000004C38: D3F30008 1C231DB6
	v_fma_f32 v152, v12, v6, v152                              // 000000004C40: D1CB0098 06620D0C
	v_fma_f32 v153, v13, v6, v153                              // 000000004C48: D1CB0099 06660D0D
	v_fma_f32 v154, v14, v6, v154                              // 000000004C50: D1CB009A 066A0D0E
	v_fma_f32 v155, v15, v6, v155                              // 000000004C58: D1CB009B 066E0D0F
	v_mfma_f32_16x16x32_fp8_fp8 v[12:15], a[184:185], a[136:137], 0// 000000004C60: D3F3000C 1A0311B8
	v_mfma_f32_16x16x32_fp8_fp8 v[12:15], a[186:187], a[138:139], v[12:15]// 000000004C68: D3F3000C 1C3315BA
	v_mfma_f32_16x16x32_fp8_fp8 v[12:15], a[188:189], a[140:141], v[12:15]// 000000004C70: D3F3000C 1C3319BC
	v_mfma_f32_16x16x32_fp8_fp8 v[12:15], a[190:191], a[142:143], v[12:15]// 000000004C78: D3F3000C 1C331DBE
	v_fma_f32 v120, v8, v4, v120                               // 000000004C80: D1CB0078 05E20908
	v_fma_f32 v121, v9, v4, v121                               // 000000004C88: D1CB0079 05E60909
	v_fma_f32 v122, v10, v4, v122                              // 000000004C90: D1CB007A 05EA090A
	v_fma_f32 v123, v11, v4, v123                              // 000000004C98: D1CB007B 05EE090B
	v_fma_f32 v156, v12, v4, v156                              // 000000004CA0: D1CB009C 0672090C
	v_fma_f32 v157, v13, v4, v157                              // 000000004CA8: D1CB009D 0676090D
	v_fma_f32 v158, v14, v4, v158                              // 000000004CB0: D1CB009E 067A090E
	v_fma_f32 v159, v15, v4, v159                              // 000000004CB8: D1CB009F 067E090F
	s_waitcnt vmcnt(32)                                        // 000000004CC0: BF8C8F70
	s_barrier                                                  // 000000004CC4: BF8A0000
	v_mul_f32_dpp v4, v28, v48 row_newbcast:0 row_mask:0xf bank_mask:0xf// 000000004CC8: 0A0860FA FF01501C
	v_mfma_f32_16x16x32_fp8_fp8 v[8:11], a[144:145], a[72:73], 0// 000000004CD0: D3F30008 1A029190
	buffer_load_dword v29, v23, s[32:35], 0 offen              // 000000004CD8: E0501000 80081D17
	v_mfma_f32_16x16x32_fp8_fp8 v[8:11], a[146:147], a[74:75], v[8:11]// 000000004CE0: D3F30008 1C229592
	buffer_load_dwordx4 a[176:179], v84, s[84:87], 0 offen     // 000000004CE8: E05C1000 8095B054
	v_mfma_f32_16x16x32_fp8_fp8 v[8:11], a[148:149], a[76:77], v[8:11]// 000000004CF0: D3F30008 1C229994
	v_mfma_f32_16x16x32_fp8_fp8 v[8:11], a[150:151], a[78:79], v[8:11]// 000000004CF8: D3F30008 1C229D96
	ds_read_b128 a[0:3], v2 offset:37120                       // 000000004D00: DBFE9100 00000002
	ds_read_b128 a[4:7], v2 offset:37184                       // 000000004D08: DBFE9140 04000002
	v_mfma_f32_16x16x32_fp8_fp8 v[12:15], a[152:153], a[72:73], 0// 000000004D10: D3F3000C 1A029198
	v_mfma_f32_16x16x32_fp8_fp8 v[12:15], a[154:155], a[74:75], v[12:15]// 000000004D18: D3F3000C 1C32959A
	buffer_load_dwordx4 a[180:183], v84, s[84:87], 0 offen offset:1024// 000000004D20: E05C1400 8095B454
	v_mfma_f32_16x16x32_fp8_fp8 v[12:15], a[156:157], a[76:77], v[12:15]// 000000004D28: D3F3000C 1C32999C
	v_mfma_f32_16x16x32_fp8_fp8 v[12:15], a[158:159], a[78:79], v[12:15]// 000000004D30: D3F3000C 1C329D9E
	ds_read_b128 a[8:11], v2 offset:37632                      // 000000004D38: DBFE9300 08000002
	ds_read_b128 a[12:15], v2 offset:37696                     // 000000004D40: DBFE9340 0C000002
	v_fma_f32 v160, v8, v4, v160                               // 000000004D48: D1CB00A0 06820908
	v_fma_f32 v161, v9, v4, v161                               // 000000004D50: D1CB00A1 06860909
	v_fma_f32 v162, v10, v4, v162                              // 000000004D58: D1CB00A2 068A090A
	v_fma_f32 v163, v11, v4, v163                              // 000000004D60: D1CB00A3 068E090B
	v_mul_f32_dpp v6, v28, v49 row_newbcast:0 row_mask:0xf bank_mask:0xf// 000000004D68: 0A0C62FA FF01501C
	v_mfma_f32_16x16x32_fp8_fp8 v[8:11], a[144:145], a[80:81], 0// 000000004D70: D3F30008 1A02A190
	v_mfma_f32_16x16x32_fp8_fp8 v[8:11], a[146:147], a[82:83], v[8:11]// 000000004D78: D3F30008 1C22A592
	buffer_load_dwordx4 a[184:187], v85, s[84:87], 0 offen     // 000000004D80: E05C1000 8095B855
	v_mfma_f32_16x16x32_fp8_fp8 v[8:11], a[148:149], a[84:85], v[8:11]// 000000004D88: D3F30008 1C22A994
	v_mfma_f32_16x16x32_fp8_fp8 v[8:11], a[150:151], a[86:87], v[8:11]// 000000004D90: D3F30008 1C22AD96
	ds_read_b128 a[16:19], v2 offset:38144                     // 000000004D98: DBFE9500 10000002
	ds_read_b128 a[20:23], v2 offset:38208                     // 000000004DA0: DBFE9540 14000002
	v_fma_f32 v196, v12, v4, v196                              // 000000004DA8: D1CB00C4 0712090C
	v_fma_f32 v197, v13, v4, v197                              // 000000004DB0: D1CB00C5 0716090D
	v_fma_f32 v198, v14, v4, v198                              // 000000004DB8: D1CB00C6 071A090E
	v_fma_f32 v199, v15, v4, v199                              // 000000004DC0: D1CB00C7 071E090F
	v_mfma_f32_16x16x32_fp8_fp8 v[12:15], a[152:153], a[80:81], 0// 000000004DC8: D3F3000C 1A02A198
	v_mfma_f32_16x16x32_fp8_fp8 v[12:15], a[154:155], a[82:83], v[12:15]// 000000004DD0: D3F3000C 1C32A59A
	buffer_load_dwordx4 a[188:191], v85, s[84:87], 0 offen offset:1024// 000000004DD8: E05C1400 8095BC55
	v_mfma_f32_16x16x32_fp8_fp8 v[12:15], a[156:157], a[84:85], v[12:15]// 000000004DE0: D3F3000C 1C32A99C
	v_mfma_f32_16x16x32_fp8_fp8 v[12:15], a[158:159], a[86:87], v[12:15]// 000000004DE8: D3F3000C 1C32AD9E
	ds_read_b128 a[24:27], v2 offset:38656                     // 000000004DF0: DBFE9700 18000002
	ds_read_b128 a[28:31], v2 offset:38720                     // 000000004DF8: DBFE9740 1C000002
	v_fma_f32 v164, v8, v6, v164                               // 000000004E00: D1CB00A4 06920D08
	v_fma_f32 v165, v9, v6, v165                               // 000000004E08: D1CB00A5 06960D09
	v_fma_f32 v166, v10, v6, v166                              // 000000004E10: D1CB00A6 069A0D0A
	v_fma_f32 v167, v11, v6, v167                              // 000000004E18: D1CB00A7 069E0D0B
	v_mul_f32_dpp v4, v28, v50 row_newbcast:0 row_mask:0xf bank_mask:0xf// 000000004E20: 0A0864FA FF01501C
	v_mfma_f32_16x16x32_fp8_fp8 v[8:11], a[144:145], a[88:89], 0// 000000004E28: D3F30008 1A02B190
	v_mfma_f32_16x16x32_fp8_fp8 v[8:11], a[146:147], a[90:91], v[8:11]// 000000004E30: D3F30008 1C22B592
	v_mfma_f32_16x16x32_fp8_fp8 v[8:11], a[148:149], a[92:93], v[8:11]// 000000004E38: D3F30008 1C22B994
	v_mfma_f32_16x16x32_fp8_fp8 v[8:11], a[150:151], a[94:95], v[8:11]// 000000004E40: D3F30008 1C22BD96
	ds_read_b128 a[32:35], v2 offset:39168                     // 000000004E48: DBFE9900 20000002
	ds_read_b128 a[36:39], v2 offset:39232                     // 000000004E50: DBFE9940 24000002
	v_fma_f32 v200, v12, v6, v200                              // 000000004E58: D1CB00C8 07220D0C
	v_fma_f32 v201, v13, v6, v201                              // 000000004E60: D1CB00C9 07260D0D
	v_fma_f32 v202, v14, v6, v202                              // 000000004E68: D1CB00CA 072A0D0E
	v_fma_f32 v203, v15, v6, v203                              // 000000004E70: D1CB00CB 072E0D0F
	v_mfma_f32_16x16x32_fp8_fp8 v[12:15], a[152:153], a[88:89], 0// 000000004E78: D3F3000C 1A02B198
	v_mfma_f32_16x16x32_fp8_fp8 v[12:15], a[154:155], a[90:91], v[12:15]// 000000004E80: D3F3000C 1C32B59A
	v_mfma_f32_16x16x32_fp8_fp8 v[12:15], a[156:157], a[92:93], v[12:15]// 000000004E88: D3F3000C 1C32B99C
	v_mfma_f32_16x16x32_fp8_fp8 v[12:15], a[158:159], a[94:95], v[12:15]// 000000004E90: D3F3000C 1C32BD9E
	ds_read_b128 a[40:43], v2 offset:39680                     // 000000004E98: DBFE9B00 28000002
	ds_read_b128 a[44:47], v2 offset:39744                     // 000000004EA0: DBFE9B40 2C000002
	v_fma_f32 v168, v8, v4, v168                               // 000000004EA8: D1CB00A8 06A20908
	v_fma_f32 v169, v9, v4, v169                               // 000000004EB0: D1CB00A9 06A60909
	v_fma_f32 v170, v10, v4, v170                              // 000000004EB8: D1CB00AA 06AA090A
	v_fma_f32 v171, v11, v4, v171                              // 000000004EC0: D1CB00AB 06AE090B
	v_mul_f32_dpp v6, v28, v51 row_newbcast:0 row_mask:0xf bank_mask:0xf// 000000004EC8: 0A0C66FA FF01501C
	v_mfma_f32_16x16x32_fp8_fp8 v[8:11], a[144:145], a[96:97], 0// 000000004ED0: D3F30008 1A02C190
	v_mfma_f32_16x16x32_fp8_fp8 v[8:11], a[146:147], a[98:99], v[8:11]// 000000004ED8: D3F30008 1C22C592
	v_mfma_f32_16x16x32_fp8_fp8 v[8:11], a[148:149], a[100:101], v[8:11]// 000000004EE0: D3F30008 1C22C994
	v_mfma_f32_16x16x32_fp8_fp8 v[8:11], a[150:151], a[102:103], v[8:11]// 000000004EE8: D3F30008 1C22CD96
	ds_read_b128 a[48:51], v2 offset:40192                     // 000000004EF0: DBFE9D00 30000002
	ds_read_b128 a[52:55], v2 offset:40256                     // 000000004EF8: DBFE9D40 34000002
	v_fma_f32 v204, v12, v4, v204                              // 000000004F00: D1CB00CC 0732090C
	v_fma_f32 v205, v13, v4, v205                              // 000000004F08: D1CB00CD 0736090D
	v_fma_f32 v206, v14, v4, v206                              // 000000004F10: D1CB00CE 073A090E
	v_fma_f32 v207, v15, v4, v207                              // 000000004F18: D1CB00CF 073E090F
	v_mfma_f32_16x16x32_fp8_fp8 v[12:15], a[152:153], a[96:97], 0// 000000004F20: D3F3000C 1A02C198
	v_mfma_f32_16x16x32_fp8_fp8 v[12:15], a[154:155], a[98:99], v[12:15]// 000000004F28: D3F3000C 1C32C59A
	v_mfma_f32_16x16x32_fp8_fp8 v[12:15], a[156:157], a[100:101], v[12:15]// 000000004F30: D3F3000C 1C32C99C
	v_mfma_f32_16x16x32_fp8_fp8 v[12:15], a[158:159], a[102:103], v[12:15]// 000000004F38: D3F3000C 1C32CD9E
	ds_read_b128 a[56:59], v2 offset:40704                     // 000000004F40: DBFE9F00 38000002
	ds_read_b128 a[60:63], v2 offset:40768                     // 000000004F48: DBFE9F40 3C000002
	v_fma_f32 v172, v8, v6, v172                               // 000000004F50: D1CB00AC 06B20D08
	v_fma_f32 v173, v9, v6, v173                               // 000000004F58: D1CB00AD 06B60D09
	v_fma_f32 v174, v10, v6, v174                              // 000000004F60: D1CB00AE 06BA0D0A
	v_fma_f32 v175, v11, v6, v175                              // 000000004F68: D1CB00AF 06BE0D0B
	v_mul_f32_dpp v4, v28, v52 row_newbcast:0 row_mask:0xf bank_mask:0xf// 000000004F70: 0A0868FA FF01501C
	v_mfma_f32_16x16x32_fp8_fp8 v[8:11], a[144:145], a[104:105], 0// 000000004F78: D3F30008 1A02D190
	v_mfma_f32_16x16x32_fp8_fp8 v[8:11], a[146:147], a[106:107], v[8:11]// 000000004F80: D3F30008 1C22D592
	v_mfma_f32_16x16x32_fp8_fp8 v[8:11], a[148:149], a[108:109], v[8:11]// 000000004F88: D3F30008 1C22D994
	v_mfma_f32_16x16x32_fp8_fp8 v[8:11], a[150:151], a[110:111], v[8:11]// 000000004F90: D3F30008 1C22DD96
	ds_read_b128 a[64:67], v2 offset:41216                     // 000000004F98: DBFEA100 40000002
	ds_read_b128 a[68:71], v2 offset:41280                     // 000000004FA0: DBFEA140 44000002
	v_fma_f32 v208, v12, v6, v208                              // 000000004FA8: D1CB00D0 07420D0C
	v_fma_f32 v209, v13, v6, v209                              // 000000004FB0: D1CB00D1 07460D0D
	v_fma_f32 v210, v14, v6, v210                              // 000000004FB8: D1CB00D2 074A0D0E
	v_fma_f32 v211, v15, v6, v211                              // 000000004FC0: D1CB00D3 074E0D0F
	v_mfma_f32_16x16x32_fp8_fp8 v[12:15], a[152:153], a[104:105], 0// 000000004FC8: D3F3000C 1A02D198
	v_mfma_f32_16x16x32_fp8_fp8 v[12:15], a[154:155], a[106:107], v[12:15]// 000000004FD0: D3F3000C 1C32D59A
	v_mfma_f32_16x16x32_fp8_fp8 v[12:15], a[156:157], a[108:109], v[12:15]// 000000004FD8: D3F3000C 1C32D99C
	v_mfma_f32_16x16x32_fp8_fp8 v[12:15], a[158:159], a[110:111], v[12:15]// 000000004FE0: D3F3000C 1C32DD9E
	v_fma_f32 v176, v8, v4, v176                               // 000000004FE8: D1CB00B0 06C20908
	v_fma_f32 v177, v9, v4, v177                               // 000000004FF0: D1CB00B1 06C60909
	v_fma_f32 v178, v10, v4, v178                              // 000000004FF8: D1CB00B2 06CA090A
	v_fma_f32 v179, v11, v4, v179                              // 000000005000: D1CB00B3 06CE090B
	v_mul_f32_dpp v6, v28, v53 row_newbcast:0 row_mask:0xf bank_mask:0xf// 000000005008: 0A0C6AFA FF01501C
	v_mfma_f32_16x16x32_fp8_fp8 v[8:11], a[144:145], a[112:113], 0// 000000005010: D3F30008 1A02E190
	v_mfma_f32_16x16x32_fp8_fp8 v[8:11], a[146:147], a[114:115], v[8:11]// 000000005018: D3F30008 1C22E592
	v_mfma_f32_16x16x32_fp8_fp8 v[8:11], a[148:149], a[116:117], v[8:11]// 000000005020: D3F30008 1C22E994
	v_mfma_f32_16x16x32_fp8_fp8 v[8:11], a[150:151], a[118:119], v[8:11]// 000000005028: D3F30008 1C22ED96
	v_fma_f32 v212, v12, v4, v212                              // 000000005030: D1CB00D4 0752090C
	v_fma_f32 v213, v13, v4, v213                              // 000000005038: D1CB00D5 0756090D
	v_fma_f32 v214, v14, v4, v214                              // 000000005040: D1CB00D6 075A090E
	v_fma_f32 v215, v15, v4, v215                              // 000000005048: D1CB00D7 075E090F
	v_mfma_f32_16x16x32_fp8_fp8 v[12:15], a[152:153], a[112:113], 0// 000000005050: D3F3000C 1A02E198
	v_mfma_f32_16x16x32_fp8_fp8 v[12:15], a[154:155], a[114:115], v[12:15]// 000000005058: D3F3000C 1C32E59A
	v_mfma_f32_16x16x32_fp8_fp8 v[12:15], a[156:157], a[116:117], v[12:15]// 000000005060: D3F3000C 1C32E99C
	v_mfma_f32_16x16x32_fp8_fp8 v[12:15], a[158:159], a[118:119], v[12:15]// 000000005068: D3F3000C 1C32ED9E
	v_fma_f32 v180, v8, v6, v180                               // 000000005070: D1CB00B4 06D20D08
	v_fma_f32 v181, v9, v6, v181                               // 000000005078: D1CB00B5 06D60D09
	v_fma_f32 v182, v10, v6, v182                              // 000000005080: D1CB00B6 06DA0D0A
	v_fma_f32 v183, v11, v6, v183                              // 000000005088: D1CB00B7 06DE0D0B
	v_mul_f32_dpp v4, v28, v54 row_newbcast:0 row_mask:0xf bank_mask:0xf// 000000005090: 0A086CFA FF01501C
	v_mfma_f32_16x16x32_fp8_fp8 v[8:11], a[144:145], a[120:121], 0// 000000005098: D3F30008 1A02F190
	v_mfma_f32_16x16x32_fp8_fp8 v[8:11], a[146:147], a[122:123], v[8:11]// 0000000050A0: D3F30008 1C22F592
	v_mfma_f32_16x16x32_fp8_fp8 v[8:11], a[148:149], a[124:125], v[8:11]// 0000000050A8: D3F30008 1C22F994
	v_mfma_f32_16x16x32_fp8_fp8 v[8:11], a[150:151], a[126:127], v[8:11]// 0000000050B0: D3F30008 1C22FD96
	v_fma_f32 v216, v12, v6, v216                              // 0000000050B8: D1CB00D8 07620D0C
	v_fma_f32 v217, v13, v6, v217                              // 0000000050C0: D1CB00D9 07660D0D
	v_fma_f32 v218, v14, v6, v218                              // 0000000050C8: D1CB00DA 076A0D0E
	v_fma_f32 v219, v15, v6, v219                              // 0000000050D0: D1CB00DB 076E0D0F
	v_mfma_f32_16x16x32_fp8_fp8 v[12:15], a[152:153], a[120:121], 0// 0000000050D8: D3F3000C 1A02F198
	v_mfma_f32_16x16x32_fp8_fp8 v[12:15], a[154:155], a[122:123], v[12:15]// 0000000050E0: D3F3000C 1C32F59A
	v_mfma_f32_16x16x32_fp8_fp8 v[12:15], a[156:157], a[124:125], v[12:15]// 0000000050E8: D3F3000C 1C32F99C
	v_mfma_f32_16x16x32_fp8_fp8 v[12:15], a[158:159], a[126:127], v[12:15]// 0000000050F0: D3F3000C 1C32FD9E
	v_fma_f32 v184, v8, v4, v184                               // 0000000050F8: D1CB00B8 06E20908
	v_fma_f32 v185, v9, v4, v185                               // 000000005100: D1CB00B9 06E60909
	v_fma_f32 v186, v10, v4, v186                              // 000000005108: D1CB00BA 06EA090A
	v_fma_f32 v187, v11, v4, v187                              // 000000005110: D1CB00BB 06EE090B
	v_mul_f32_dpp v6, v28, v55 row_newbcast:0 row_mask:0xf bank_mask:0xf// 000000005118: 0A0C6EFA FF01501C
	v_mfma_f32_16x16x32_fp8_fp8 v[8:11], a[144:145], a[128:129], 0// 000000005120: D3F30008 1A030190
	v_mfma_f32_16x16x32_fp8_fp8 v[8:11], a[146:147], a[130:131], v[8:11]// 000000005128: D3F30008 1C230592
	v_mfma_f32_16x16x32_fp8_fp8 v[8:11], a[148:149], a[132:133], v[8:11]// 000000005130: D3F30008 1C230994
	v_mfma_f32_16x16x32_fp8_fp8 v[8:11], a[150:151], a[134:135], v[8:11]// 000000005138: D3F30008 1C230D96
	v_fma_f32 v220, v12, v4, v220                              // 000000005140: D1CB00DC 0772090C
	v_fma_f32 v221, v13, v4, v221                              // 000000005148: D1CB00DD 0776090D
	v_fma_f32 v222, v14, v4, v222                              // 000000005150: D1CB00DE 077A090E
	v_fma_f32 v223, v15, v4, v223                              // 000000005158: D1CB00DF 077E090F
	v_mfma_f32_16x16x32_fp8_fp8 v[12:15], a[152:153], a[128:129], 0// 000000005160: D3F3000C 1A030198
	v_mfma_f32_16x16x32_fp8_fp8 v[12:15], a[154:155], a[130:131], v[12:15]// 000000005168: D3F3000C 1C33059A
	v_mfma_f32_16x16x32_fp8_fp8 v[12:15], a[156:157], a[132:133], v[12:15]// 000000005170: D3F3000C 1C33099C
	v_mfma_f32_16x16x32_fp8_fp8 v[12:15], a[158:159], a[134:135], v[12:15]// 000000005178: D3F3000C 1C330D9E
	v_fma_f32 v188, v8, v6, v188                               // 000000005180: D1CB00BC 06F20D08
	v_fma_f32 v189, v9, v6, v189                               // 000000005188: D1CB00BD 06F60D09
	v_fma_f32 v190, v10, v6, v190                              // 000000005190: D1CB00BE 06FA0D0A
	v_fma_f32 v191, v11, v6, v191                              // 000000005198: D1CB00BF 06FE0D0B
	v_mul_f32_dpp v4, v28, v56 row_newbcast:0 row_mask:0xf bank_mask:0xf// 0000000051A0: 0A0870FA FF01501C
	v_mfma_f32_16x16x32_fp8_fp8 v[8:11], a[144:145], a[136:137], 0// 0000000051A8: D3F30008 1A031190
	s_add_u32 s60, 0x180, s80                                  // 0000000051B0: 803C50FF 00000180
	s_cmp_lt_u32 s60, s81                                      // 0000000051B8: BF0A513C
	s_cselect_b32 s57, s57, 0                                  // 0000000051BC: 85398039
	s_cselect_b32 s3, s3, 0                                    // 0000000051C0: 85038003
	v_mfma_f32_16x16x32_fp8_fp8 v[8:11], a[146:147], a[138:139], v[8:11]// 0000000051C4: D3F30008 1C231592
	s_add_u32 s60, 0x100, s80                                  // 0000000051CC: 803C50FF 00000100
	s_cmp_lt_u32 s60, s81                                      // 0000000051D4: BF0A513C
	s_cselect_b32 s58, s58, 0                                  // 0000000051D8: 853A803A
	v_mfma_f32_16x16x32_fp8_fp8 v[8:11], a[148:149], a[140:141], v[8:11]// 0000000051DC: D3F30008 1C231994
	s_add_u32 s60, 0x100, s80                                  // 0000000051E4: 803C50FF 00000100
	s_cmp_lt_u32 s60, s81                                      // 0000000051EC: BF0A513C
	s_cselect_b32 s83, s83, 0                                  // 0000000051F0: 85538053
	s_cselect_b32 s4, s4, 0                                    // 0000000051F4: 85048004
	v_mfma_f32_16x16x32_fp8_fp8 v[8:11], a[150:151], a[142:143], v[8:11]// 0000000051F8: D3F30008 1C231D96
	s_add_u32 s24, s58, s24                                    // 000000005200: 8018183A
	s_addc_u32 s25, 0, s25                                     // 000000005204: 82191980
	v_fma_f32 v224, v12, v6, v224                              // 000000005208: D1CB00E0 07820D0C
	v_fma_f32 v225, v13, v6, v225                              // 000000005210: D1CB00E1 07860D0D
	v_fma_f32 v226, v14, v6, v226                              // 000000005218: D1CB00E2 078A0D0E
	v_fma_f32 v227, v15, v6, v227                              // 000000005220: D1CB00E3 078E0D0F
	v_mfma_f32_16x16x32_fp8_fp8 v[12:15], a[152:153], a[136:137], 0// 000000005228: D3F3000C 1A031198
	s_add_u32 s20, s57, s20                                    // 000000005230: 80141439
	s_addc_u32 s21, 0, s21                                     // 000000005234: 82151580
	s_add_u32 s28, s3, s28                                     // 000000005238: 801C1C03
	s_addc_u32 s29, 0, s29                                     // 00000000523C: 821D1D80
	v_mfma_f32_16x16x32_fp8_fp8 v[12:15], a[154:155], a[138:139], v[12:15]// 000000005240: D3F3000C 1C33159A
	s_add_u32 s84, s83, s84                                    // 000000005248: 80545453
	s_addc_u32 s85, 0, s85                                     // 00000000524C: 82555580
	v_mfma_f32_16x16x32_fp8_fp8 v[12:15], a[156:157], a[140:141], v[12:15]// 000000005250: D3F3000C 1C33199C
	s_add_u32 s32, s4, s32                                     // 000000005258: 80202004
	s_addc_u32 s33, 0, s33                                     // 00000000525C: 82212180
	v_mfma_f32_16x16x32_fp8_fp8 v[12:15], a[158:159], a[142:143], v[12:15]// 000000005260: D3F3000C 1C331D9E
	v_fma_f32 v192, v8, v4, v192                               // 000000005268: D1CB00C0 07020908
	v_fma_f32 v193, v9, v4, v193                               // 000000005270: D1CB00C1 07060909
	v_fma_f32 v194, v10, v4, v194                              // 000000005278: D1CB00C2 070A090A
	v_fma_f32 v195, v11, v4, v195                              // 000000005280: D1CB00C3 070E090B
	v_fma_f32 v228, v12, v4, v228                              // 000000005288: D1CB00E4 0792090C
	v_fma_f32 v229, v13, v4, v229                              // 000000005290: D1CB00E5 0796090D
	v_fma_f32 v230, v14, v4, v230                              // 000000005298: D1CB00E6 079A090E
	v_fma_f32 v231, v15, v4, v231                              // 0000000052A0: D1CB00E7 079E090F
	s_addk_i32 s80, 0x80                                       // 0000000052A8: B7500080
	s_cmp_lt_i32 s80, s81                                      // 0000000052AC: BF045150
	s_cbranch_scc0 label_167A                                  // 0000000052B0: BF840C4D
	s_waitcnt vmcnt(32) lgkmcnt(0)                             // 0000000052B4: BF8C8070
	v_mul_f32_dpp v4, v26, v57 row_newbcast:0 row_mask:0xf bank_mask:0xf// 0000000052B8: 0A0872FA FF01501A
	v_mfma_f32_16x16x32_fp8_fp8 v[8:11], a[160:161], a[0:1], 0 // 0000000052C0: D3F30008 1A0201A0
	buffer_load_dword v24, v22, s[32:35], 0 offen              // 0000000052C8: E0501000 80081816
	v_mfma_f32_16x16x32_fp8_fp8 v[8:11], a[162:163], a[2:3], v[8:11]// 0000000052D0: D3F30008 1C2205A2
	buffer_load_dwordx4 a[144:147], v84, s[24:27], 0 offen     // 0000000052D8: E05C1000 80869054
	v_mfma_f32_16x16x32_fp8_fp8 v[8:11], a[164:165], a[4:5], v[8:11]// 0000000052E0: D3F30008 1C2209A4
	v_mfma_f32_16x16x32_fp8_fp8 v[8:11], a[166:167], a[6:7], v[8:11]// 0000000052E8: D3F30008 1C220DA6
	v_mfma_f32_16x16x32_fp8_fp8 v[12:15], a[168:169], a[0:1], 0// 0000000052F0: D3F3000C 1A0201A8
	v_mfma_f32_16x16x32_fp8_fp8 v[12:15], a[170:171], a[2:3], v[12:15]// 0000000052F8: D3F3000C 1C3205AA
	buffer_load_dwordx4 a[148:151], v84, s[24:27], 0 offen offset:1024// 000000005300: E05C1400 80869454
	v_mfma_f32_16x16x32_fp8_fp8 v[12:15], a[172:173], a[4:5], v[12:15]// 000000005308: D3F3000C 1C3209AC
	v_mfma_f32_16x16x32_fp8_fp8 v[12:15], a[174:175], a[6:7], v[12:15]// 000000005310: D3F3000C 1C320DAE
	v_fma_f32 v88, v8, v4, v88                                 // 000000005318: D1CB0058 05620908
	v_fma_f32 v89, v9, v4, v89                                 // 000000005320: D1CB0059 05660909
	v_fma_f32 v90, v10, v4, v90                                // 000000005328: D1CB005A 056A090A
	v_fma_f32 v91, v11, v4, v91                                // 000000005330: D1CB005B 056E090B
	v_mul_f32_dpp v6, v26, v58 row_newbcast:0 row_mask:0xf bank_mask:0xf// 000000005338: 0A0C74FA FF01501A
	v_mfma_f32_16x16x32_fp8_fp8 v[8:11], a[160:161], a[8:9], 0 // 000000005340: D3F30008 1A0211A0
	v_mfma_f32_16x16x32_fp8_fp8 v[8:11], a[162:163], a[10:11], v[8:11]// 000000005348: D3F30008 1C2215A2
	buffer_load_dwordx4 a[152:155], v85, s[24:27], 0 offen     // 000000005350: E05C1000 80869855
	v_mfma_f32_16x16x32_fp8_fp8 v[8:11], a[164:165], a[12:13], v[8:11]// 000000005358: D3F30008 1C2219A4
	v_mfma_f32_16x16x32_fp8_fp8 v[8:11], a[166:167], a[14:15], v[8:11]// 000000005360: D3F30008 1C221DA6
	v_fma_f32 v124, v12, v4, v124                              // 000000005368: D1CB007C 05F2090C
	v_fma_f32 v125, v13, v4, v125                              // 000000005370: D1CB007D 05F6090D
	v_fma_f32 v126, v14, v4, v126                              // 000000005378: D1CB007E 05FA090E
	v_fma_f32 v127, v15, v4, v127                              // 000000005380: D1CB007F 05FE090F
	v_mfma_f32_16x16x32_fp8_fp8 v[12:15], a[168:169], a[8:9], 0// 000000005388: D3F3000C 1A0211A8
	v_mfma_f32_16x16x32_fp8_fp8 v[12:15], a[170:171], a[10:11], v[12:15]// 000000005390: D3F3000C 1C3215AA
	buffer_load_dwordx4 a[156:159], v85, s[24:27], 0 offen offset:1024// 000000005398: E05C1400 80869C55
	buffer_load_dword v66, s[20:23], 0 offen lds               // 0000000053A0: E0511000 80050042
	s_add_u32 m0, 0x100, s49                                   // 0000000053A8: 807C31FF 00000100
	v_mfma_f32_16x16x32_fp8_fp8 v[12:15], a[172:173], a[12:13], v[12:15]// 0000000053B0: D3F3000C 1C3219AC
	v_mfma_f32_16x16x32_fp8_fp8 v[12:15], a[174:175], a[14:15], v[12:15]// 0000000053B8: D3F3000C 1C321DAE
	buffer_load_dword v67, s[20:23], 0 offen lds               // 0000000053C0: E0511000 80050043
	s_add_u32 m0, 0x200, s49                                   // 0000000053C8: 807C31FF 00000200
	v_fma_f32 v92, v8, v6, v92                                 // 0000000053D0: D1CB005C 05720D08
	v_fma_f32 v93, v9, v6, v93                                 // 0000000053D8: D1CB005D 05760D09
	v_fma_f32 v94, v10, v6, v94                                // 0000000053E0: D1CB005E 057A0D0A
	v_fma_f32 v95, v11, v6, v95                                // 0000000053E8: D1CB005F 057E0D0B
	v_mul_f32_dpp v4, v26, v59 row_newbcast:0 row_mask:0xf bank_mask:0xf// 0000000053F0: 0A0876FA FF01501A
	v_mfma_f32_16x16x32_fp8_fp8 v[8:11], a[160:161], a[16:17], 0// 0000000053F8: D3F30008 1A0221A0
	v_mfma_f32_16x16x32_fp8_fp8 v[8:11], a[162:163], a[18:19], v[8:11]// 000000005400: D3F30008 1C2225A2
	buffer_load_dword v68, s[20:23], 0 offen lds               // 000000005408: E0511000 80050044
	s_add_u32 m0, 0x300, s49                                   // 000000005410: 807C31FF 00000300
	v_mfma_f32_16x16x32_fp8_fp8 v[8:11], a[164:165], a[20:21], v[8:11]// 000000005418: D3F30008 1C2229A4
	v_mfma_f32_16x16x32_fp8_fp8 v[8:11], a[166:167], a[22:23], v[8:11]// 000000005420: D3F30008 1C222DA6
	buffer_load_dword v69, s[20:23], 0 offen lds               // 000000005428: E0511000 80050045
	s_add_u32 m0, 0x400, s49                                   // 000000005430: 807C31FF 00000400
	v_fma_f32 v128, v12, v6, v128                              // 000000005438: D1CB0080 06020D0C
	v_fma_f32 v129, v13, v6, v129                              // 000000005440: D1CB0081 06060D0D
	v_fma_f32 v130, v14, v6, v130                              // 000000005448: D1CB0082 060A0D0E
	v_fma_f32 v131, v15, v6, v131                              // 000000005450: D1CB0083 060E0D0F
	v_mfma_f32_16x16x32_fp8_fp8 v[12:15], a[168:169], a[16:17], 0// 000000005458: D3F3000C 1A0221A8
	v_mfma_f32_16x16x32_fp8_fp8 v[12:15], a[170:171], a[18:19], v[12:15]// 000000005460: D3F3000C 1C3225AA
	buffer_load_dword v70, s[20:23], 0 offen lds               // 000000005468: E0511000 80050046
	s_add_u32 m0, 0x500, s49                                   // 000000005470: 807C31FF 00000500
	v_mfma_f32_16x16x32_fp8_fp8 v[12:15], a[172:173], a[20:21], v[12:15]// 000000005478: D3F3000C 1C3229AC
	v_mfma_f32_16x16x32_fp8_fp8 v[12:15], a[174:175], a[22:23], v[12:15]// 000000005480: D3F3000C 1C322DAE
	buffer_load_dword v71, s[20:23], 0 offen lds               // 000000005488: E0511000 80050047
	s_add_u32 m0, 0x600, s49                                   // 000000005490: 807C31FF 00000600
	v_fma_f32 v96, v8, v4, v96                                 // 000000005498: D1CB0060 05820908
	v_fma_f32 v97, v9, v4, v97                                 // 0000000054A0: D1CB0061 05860909
	v_fma_f32 v98, v10, v4, v98                                // 0000000054A8: D1CB0062 058A090A
	v_fma_f32 v99, v11, v4, v99                                // 0000000054B0: D1CB0063 058E090B
	v_mul_f32_dpp v6, v26, v60 row_newbcast:0 row_mask:0xf bank_mask:0xf// 0000000054B8: 0A0C78FA FF01501A
	v_mfma_f32_16x16x32_fp8_fp8 v[8:11], a[160:161], a[24:25], 0// 0000000054C0: D3F30008 1A0231A0
	v_mfma_f32_16x16x32_fp8_fp8 v[8:11], a[162:163], a[26:27], v[8:11]// 0000000054C8: D3F30008 1C2235A2
	buffer_load_dword v72, s[20:23], 0 offen lds               // 0000000054D0: E0511000 80050048
	s_add_u32 m0, 0x700, s49                                   // 0000000054D8: 807C31FF 00000700
	v_mfma_f32_16x16x32_fp8_fp8 v[8:11], a[164:165], a[28:29], v[8:11]// 0000000054E0: D3F30008 1C2239A4
	v_mfma_f32_16x16x32_fp8_fp8 v[8:11], a[166:167], a[30:31], v[8:11]// 0000000054E8: D3F30008 1C223DA6
	buffer_load_dword v73, s[20:23], 0 offen lds               // 0000000054F0: E0511000 80050049
	s_add_u32 m0, 0x800, s49                                   // 0000000054F8: 807C31FF 00000800
	v_fma_f32 v132, v12, v4, v132                              // 000000005500: D1CB0084 0612090C
	v_fma_f32 v133, v13, v4, v133                              // 000000005508: D1CB0085 0616090D
	v_fma_f32 v134, v14, v4, v134                              // 000000005510: D1CB0086 061A090E
	v_fma_f32 v135, v15, v4, v135                              // 000000005518: D1CB0087 061E090F
	v_mfma_f32_16x16x32_fp8_fp8 v[12:15], a[168:169], a[24:25], 0// 000000005520: D3F3000C 1A0231A8
	v_mfma_f32_16x16x32_fp8_fp8 v[12:15], a[170:171], a[26:27], v[12:15]// 000000005528: D3F3000C 1C3235AA
	buffer_load_dword v74, s[20:23], 0 offen lds               // 000000005530: E0511000 8005004A
	s_add_u32 m0, 0x900, s49                                   // 000000005538: 807C31FF 00000900
	v_mfma_f32_16x16x32_fp8_fp8 v[12:15], a[172:173], a[28:29], v[12:15]// 000000005540: D3F3000C 1C3239AC
	v_mfma_f32_16x16x32_fp8_fp8 v[12:15], a[174:175], a[30:31], v[12:15]// 000000005548: D3F3000C 1C323DAE
	buffer_load_dword v75, s[20:23], 0 offen lds               // 000000005550: E0511000 8005004B
	s_add_u32 m0, 0xa00, s49                                   // 000000005558: 807C31FF 00000A00
	v_fma_f32 v100, v8, v6, v100                               // 000000005560: D1CB0064 05920D08
	v_fma_f32 v101, v9, v6, v101                               // 000000005568: D1CB0065 05960D09
	v_fma_f32 v102, v10, v6, v102                              // 000000005570: D1CB0066 059A0D0A
	v_fma_f32 v103, v11, v6, v103                              // 000000005578: D1CB0067 059E0D0B
	v_mul_f32_dpp v4, v26, v61 row_newbcast:0 row_mask:0xf bank_mask:0xf// 000000005580: 0A087AFA FF01501A
	v_mfma_f32_16x16x32_fp8_fp8 v[8:11], a[160:161], a[32:33], 0// 000000005588: D3F30008 1A0241A0
	v_mfma_f32_16x16x32_fp8_fp8 v[8:11], a[162:163], a[34:35], v[8:11]// 000000005590: D3F30008 1C2245A2
	buffer_load_dword v76, s[20:23], 0 offen lds               // 000000005598: E0511000 8005004C
	s_add_u32 m0, 0xb00, s49                                   // 0000000055A0: 807C31FF 00000B00
	v_mfma_f32_16x16x32_fp8_fp8 v[8:11], a[164:165], a[36:37], v[8:11]// 0000000055A8: D3F30008 1C2249A4
	v_mfma_f32_16x16x32_fp8_fp8 v[8:11], a[166:167], a[38:39], v[8:11]// 0000000055B0: D3F30008 1C224DA6
	buffer_load_dword v77, s[20:23], 0 offen lds               // 0000000055B8: E0511000 8005004D
	s_add_u32 m0, 0xc00, s49                                   // 0000000055C0: 807C31FF 00000C00
	v_fma_f32 v136, v12, v6, v136                              // 0000000055C8: D1CB0088 06220D0C
	v_fma_f32 v137, v13, v6, v137                              // 0000000055D0: D1CB0089 06260D0D
	v_fma_f32 v138, v14, v6, v138                              // 0000000055D8: D1CB008A 062A0D0E
	v_fma_f32 v139, v15, v6, v139                              // 0000000055E0: D1CB008B 062E0D0F
	v_mfma_f32_16x16x32_fp8_fp8 v[12:15], a[168:169], a[32:33], 0// 0000000055E8: D3F3000C 1A0241A8
	v_mfma_f32_16x16x32_fp8_fp8 v[12:15], a[170:171], a[34:35], v[12:15]// 0000000055F0: D3F3000C 1C3245AA
	buffer_load_dword v78, s[20:23], 0 offen lds               // 0000000055F8: E0511000 8005004E
	s_add_u32 m0, 0xd00, s49                                   // 000000005600: 807C31FF 00000D00
	v_mfma_f32_16x16x32_fp8_fp8 v[12:15], a[172:173], a[36:37], v[12:15]// 000000005608: D3F3000C 1C3249AC
	v_mfma_f32_16x16x32_fp8_fp8 v[12:15], a[174:175], a[38:39], v[12:15]// 000000005610: D3F3000C 1C324DAE
	buffer_load_dword v79, s[20:23], 0 offen lds               // 000000005618: E0511000 8005004F
	s_add_u32 m0, 0xe00, s49                                   // 000000005620: 807C31FF 00000E00
	v_fma_f32 v104, v8, v4, v104                               // 000000005628: D1CB0068 05A20908
	v_fma_f32 v105, v9, v4, v105                               // 000000005630: D1CB0069 05A60909
	v_fma_f32 v106, v10, v4, v106                              // 000000005638: D1CB006A 05AA090A
	v_fma_f32 v107, v11, v4, v107                              // 000000005640: D1CB006B 05AE090B
	v_mul_f32_dpp v6, v26, v62 row_newbcast:0 row_mask:0xf bank_mask:0xf// 000000005648: 0A0C7CFA FF01501A
	v_mfma_f32_16x16x32_fp8_fp8 v[8:11], a[160:161], a[40:41], 0// 000000005650: D3F30008 1A0251A0
	v_mfma_f32_16x16x32_fp8_fp8 v[8:11], a[162:163], a[42:43], v[8:11]// 000000005658: D3F30008 1C2255A2
	buffer_load_dword v80, s[20:23], 0 offen lds               // 000000005660: E0511000 80050050
	s_add_u32 m0, 0xf00, s49                                   // 000000005668: 807C31FF 00000F00
	v_mfma_f32_16x16x32_fp8_fp8 v[8:11], a[164:165], a[44:45], v[8:11]// 000000005670: D3F30008 1C2259A4
	v_mfma_f32_16x16x32_fp8_fp8 v[8:11], a[166:167], a[46:47], v[8:11]// 000000005678: D3F30008 1C225DA6
	buffer_load_dword v81, s[20:23], 0 offen lds               // 000000005680: E0511000 80050051
	s_add_u32 m0, 0x1000, s49                                  // 000000005688: 807C31FF 00001000
	v_fma_f32 v140, v12, v4, v140                              // 000000005690: D1CB008C 0632090C
	v_fma_f32 v141, v13, v4, v141                              // 000000005698: D1CB008D 0636090D
	v_fma_f32 v142, v14, v4, v142                              // 0000000056A0: D1CB008E 063A090E
	v_fma_f32 v143, v15, v4, v143                              // 0000000056A8: D1CB008F 063E090F
	v_mfma_f32_16x16x32_fp8_fp8 v[12:15], a[168:169], a[40:41], 0// 0000000056B0: D3F3000C 1A0251A8
	v_mfma_f32_16x16x32_fp8_fp8 v[12:15], a[170:171], a[42:43], v[12:15]// 0000000056B8: D3F3000C 1C3255AA
	buffer_load_dword v82, s[20:23], 0 offen lds               // 0000000056C0: E0511000 80050052
	s_add_u32 m0, 0x1100, s49                                  // 0000000056C8: 807C31FF 00001100
	v_mfma_f32_16x16x32_fp8_fp8 v[12:15], a[172:173], a[44:45], v[12:15]// 0000000056D0: D3F3000C 1C3259AC
	v_mfma_f32_16x16x32_fp8_fp8 v[12:15], a[174:175], a[46:47], v[12:15]// 0000000056D8: D3F3000C 1C325DAE
	buffer_load_dword v83, s[20:23], 0 offen lds               // 0000000056E0: E0511000 80050053
	s_add_u32 m0, 0, s50                                       // 0000000056E8: 807C3280
	v_fma_f32 v108, v8, v6, v108                               // 0000000056EC: D1CB006C 05B20D08
	v_fma_f32 v109, v9, v6, v109                               // 0000000056F4: D1CB006D 05B60D09
	v_fma_f32 v110, v10, v6, v110                              // 0000000056FC: D1CB006E 05BA0D0A
	v_fma_f32 v111, v11, v6, v111                              // 000000005704: D1CB006F 05BE0D0B
	v_mul_f32_dpp v4, v26, v63 row_newbcast:0 row_mask:0xf bank_mask:0xf// 00000000570C: 0A087EFA FF01501A
	v_mfma_f32_16x16x32_fp8_fp8 v[8:11], a[160:161], a[48:49], 0// 000000005714: D3F30008 1A0261A0
	v_mfma_f32_16x16x32_fp8_fp8 v[8:11], a[162:163], a[50:51], v[8:11]// 00000000571C: D3F30008 1C2265A2
	buffer_load_dword v48, v30, s[28:31], 0 offen              // 000000005724: E0501000 8007301E
	v_mfma_f32_16x16x32_fp8_fp8 v[8:11], a[164:165], a[52:53], v[8:11]// 00000000572C: D3F30008 1C2269A4
	v_mfma_f32_16x16x32_fp8_fp8 v[8:11], a[166:167], a[54:55], v[8:11]// 000000005734: D3F30008 1C226DA6
	buffer_load_dword v49, v31, s[28:31], 0 offen              // 00000000573C: E0501000 8007311F
	v_fma_f32 v144, v12, v6, v144                              // 000000005744: D1CB0090 06420D0C
	v_fma_f32 v145, v13, v6, v145                              // 00000000574C: D1CB0091 06460D0D
	v_fma_f32 v146, v14, v6, v146                              // 000000005754: D1CB0092 064A0D0E
	v_fma_f32 v147, v15, v6, v147                              // 00000000575C: D1CB0093 064E0D0F
	v_mfma_f32_16x16x32_fp8_fp8 v[12:15], a[168:169], a[48:49], 0// 000000005764: D3F3000C 1A0261A8
	v_mfma_f32_16x16x32_fp8_fp8 v[12:15], a[170:171], a[50:51], v[12:15]// 00000000576C: D3F3000C 1C3265AA
	buffer_load_dword v50, v32, s[28:31], 0 offen              // 000000005774: E0501000 80073220
	v_mfma_f32_16x16x32_fp8_fp8 v[12:15], a[172:173], a[52:53], v[12:15]// 00000000577C: D3F3000C 1C3269AC
	v_mfma_f32_16x16x32_fp8_fp8 v[12:15], a[174:175], a[54:55], v[12:15]// 000000005784: D3F3000C 1C326DAE
	buffer_load_dword v51, v33, s[28:31], 0 offen              // 00000000578C: E0501000 80073321
	v_fma_f32 v112, v8, v4, v112                               // 000000005794: D1CB0070 05C20908
	v_fma_f32 v113, v9, v4, v113                               // 00000000579C: D1CB0071 05C60909
	v_fma_f32 v114, v10, v4, v114                              // 0000000057A4: D1CB0072 05CA090A
	v_fma_f32 v115, v11, v4, v115                              // 0000000057AC: D1CB0073 05CE090B
	v_mul_f32_dpp v6, v26, v64 row_newbcast:0 row_mask:0xf bank_mask:0xf// 0000000057B4: 0A0C80FA FF01501A
	v_mfma_f32_16x16x32_fp8_fp8 v[8:11], a[160:161], a[56:57], 0// 0000000057BC: D3F30008 1A0271A0
	v_mfma_f32_16x16x32_fp8_fp8 v[8:11], a[162:163], a[58:59], v[8:11]// 0000000057C4: D3F30008 1C2275A2
	buffer_load_dword v52, v34, s[28:31], 0 offen              // 0000000057CC: E0501000 80073422
	v_mfma_f32_16x16x32_fp8_fp8 v[8:11], a[164:165], a[60:61], v[8:11]// 0000000057D4: D3F30008 1C2279A4
	v_mfma_f32_16x16x32_fp8_fp8 v[8:11], a[166:167], a[62:63], v[8:11]// 0000000057DC: D3F30008 1C227DA6
	buffer_load_dword v53, v35, s[28:31], 0 offen              // 0000000057E4: E0501000 80073523
	v_fma_f32 v148, v12, v4, v148                              // 0000000057EC: D1CB0094 0652090C
	v_fma_f32 v149, v13, v4, v149                              // 0000000057F4: D1CB0095 0656090D
	v_fma_f32 v150, v14, v4, v150                              // 0000000057FC: D1CB0096 065A090E
	v_fma_f32 v151, v15, v4, v151                              // 000000005804: D1CB0097 065E090F
	v_mfma_f32_16x16x32_fp8_fp8 v[12:15], a[168:169], a[56:57], 0// 00000000580C: D3F3000C 1A0271A8
	v_mfma_f32_16x16x32_fp8_fp8 v[12:15], a[170:171], a[58:59], v[12:15]// 000000005814: D3F3000C 1C3275AA
	buffer_load_dword v54, v36, s[28:31], 0 offen              // 00000000581C: E0501000 80073624
	v_mfma_f32_16x16x32_fp8_fp8 v[12:15], a[172:173], a[60:61], v[12:15]// 000000005824: D3F3000C 1C3279AC
	v_mfma_f32_16x16x32_fp8_fp8 v[12:15], a[174:175], a[62:63], v[12:15]// 00000000582C: D3F3000C 1C327DAE
	buffer_load_dword v55, v37, s[28:31], 0 offen              // 000000005834: E0501000 80073725
	v_fma_f32 v116, v8, v6, v116                               // 00000000583C: D1CB0074 05D20D08
	v_fma_f32 v117, v9, v6, v117                               // 000000005844: D1CB0075 05D60D09
	v_fma_f32 v118, v10, v6, v118                              // 00000000584C: D1CB0076 05DA0D0A
	v_fma_f32 v119, v11, v6, v119                              // 000000005854: D1CB0077 05DE0D0B
	v_mul_f32_dpp v4, v26, v65 row_newbcast:0 row_mask:0xf bank_mask:0xf// 00000000585C: 0A0882FA FF01501A
	v_mfma_f32_16x16x32_fp8_fp8 v[8:11], a[160:161], a[64:65], 0// 000000005864: D3F30008 1A0281A0
	v_mfma_f32_16x16x32_fp8_fp8 v[8:11], a[162:163], a[66:67], v[8:11]// 00000000586C: D3F30008 1C2285A2
	buffer_load_dword v56, v38, s[28:31], 0 offen              // 000000005874: E0501000 80073826
	v_mfma_f32_16x16x32_fp8_fp8 v[8:11], a[164:165], a[68:69], v[8:11]// 00000000587C: D3F30008 1C2289A4
	v_mfma_f32_16x16x32_fp8_fp8 v[8:11], a[166:167], a[70:71], v[8:11]// 000000005884: D3F30008 1C228DA6
	v_fma_f32 v152, v12, v6, v152                              // 00000000588C: D1CB0098 06620D0C
	v_fma_f32 v153, v13, v6, v153                              // 000000005894: D1CB0099 06660D0D
	v_fma_f32 v154, v14, v6, v154                              // 00000000589C: D1CB009A 066A0D0E
	v_fma_f32 v155, v15, v6, v155                              // 0000000058A4: D1CB009B 066E0D0F
	v_mfma_f32_16x16x32_fp8_fp8 v[12:15], a[168:169], a[64:65], 0// 0000000058AC: D3F3000C 1A0281A8
	v_mfma_f32_16x16x32_fp8_fp8 v[12:15], a[170:171], a[66:67], v[12:15]// 0000000058B4: D3F3000C 1C3285AA
	v_mfma_f32_16x16x32_fp8_fp8 v[12:15], a[172:173], a[68:69], v[12:15]// 0000000058BC: D3F3000C 1C3289AC
	v_mfma_f32_16x16x32_fp8_fp8 v[12:15], a[174:175], a[70:71], v[12:15]// 0000000058C4: D3F3000C 1C328DAE
	v_fma_f32 v120, v8, v4, v120                               // 0000000058CC: D1CB0078 05E20908
	v_fma_f32 v121, v9, v4, v121                               // 0000000058D4: D1CB0079 05E60909
	v_fma_f32 v122, v10, v4, v122                              // 0000000058DC: D1CB007A 05EA090A
	v_fma_f32 v123, v11, v4, v123                              // 0000000058E4: D1CB007B 05EE090B
	v_fma_f32 v156, v12, v4, v156                              // 0000000058EC: D1CB009C 0672090C
	v_fma_f32 v157, v13, v4, v157                              // 0000000058F4: D1CB009D 0676090D
	v_fma_f32 v158, v14, v4, v158                              // 0000000058FC: D1CB009E 067A090E
	v_fma_f32 v159, v15, v4, v159                              // 000000005904: D1CB009F 067E090F
	s_waitcnt vmcnt(32)                                        // 00000000590C: BF8C8F70
	s_barrier                                                  // 000000005910: BF8A0000
	v_mul_f32_dpp v4, v29, v57 row_newbcast:0 row_mask:0xf bank_mask:0xf// 000000005914: 0A0872FA FF01501D
	v_mfma_f32_16x16x32_fp8_fp8 v[8:11], a[176:177], a[0:1], 0 // 00000000591C: D3F30008 1A0201B0
	buffer_load_dword v27, v23, s[32:35], 0 offen              // 000000005924: E0501000 80081B17
	v_mfma_f32_16x16x32_fp8_fp8 v[8:11], a[178:179], a[2:3], v[8:11]// 00000000592C: D3F30008 1C2205B2
	buffer_load_dwordx4 a[160:163], v84, s[84:87], 0 offen     // 000000005934: E05C1000 8095A054
	v_mfma_f32_16x16x32_fp8_fp8 v[8:11], a[180:181], a[4:5], v[8:11]// 00000000593C: D3F30008 1C2209B4
	v_mfma_f32_16x16x32_fp8_fp8 v[8:11], a[182:183], a[6:7], v[8:11]// 000000005944: D3F30008 1C220DB6
	ds_read_b128 a[72:75], v2                                  // 00000000594C: DBFE0000 48000002
	ds_read_b128 a[76:79], v2 offset:64                        // 000000005954: DBFE0040 4C000002
	v_mfma_f32_16x16x32_fp8_fp8 v[12:15], a[184:185], a[0:1], 0// 00000000595C: D3F3000C 1A0201B8
	v_mfma_f32_16x16x32_fp8_fp8 v[12:15], a[186:187], a[2:3], v[12:15]// 000000005964: D3F3000C 1C3205BA
	buffer_load_dwordx4 a[164:167], v84, s[84:87], 0 offen offset:1024// 00000000596C: E05C1400 8095A454
	v_mfma_f32_16x16x32_fp8_fp8 v[12:15], a[188:189], a[4:5], v[12:15]// 000000005974: D3F3000C 1C3209BC
	v_mfma_f32_16x16x32_fp8_fp8 v[12:15], a[190:191], a[6:7], v[12:15]// 00000000597C: D3F3000C 1C320DBE
	ds_read_b128 a[80:83], v2 offset:512                       // 000000005984: DBFE0200 50000002
	ds_read_b128 a[84:87], v2 offset:576                       // 00000000598C: DBFE0240 54000002
	v_fma_f32 v160, v8, v4, v160                               // 000000005994: D1CB00A0 06820908
	v_fma_f32 v161, v9, v4, v161                               // 00000000599C: D1CB00A1 06860909
	v_fma_f32 v162, v10, v4, v162                              // 0000000059A4: D1CB00A2 068A090A
	v_fma_f32 v163, v11, v4, v163                              // 0000000059AC: D1CB00A3 068E090B
	v_mul_f32_dpp v6, v29, v58 row_newbcast:0 row_mask:0xf bank_mask:0xf// 0000000059B4: 0A0C74FA FF01501D
	v_mfma_f32_16x16x32_fp8_fp8 v[8:11], a[176:177], a[8:9], 0 // 0000000059BC: D3F30008 1A0211B0
	v_mfma_f32_16x16x32_fp8_fp8 v[8:11], a[178:179], a[10:11], v[8:11]// 0000000059C4: D3F30008 1C2215B2
	buffer_load_dwordx4 a[168:171], v85, s[84:87], 0 offen     // 0000000059CC: E05C1000 8095A855
	v_mfma_f32_16x16x32_fp8_fp8 v[8:11], a[180:181], a[12:13], v[8:11]// 0000000059D4: D3F30008 1C2219B4
	v_mfma_f32_16x16x32_fp8_fp8 v[8:11], a[182:183], a[14:15], v[8:11]// 0000000059DC: D3F30008 1C221DB6
	ds_read_b128 a[88:91], v2 offset:1024                      // 0000000059E4: DBFE0400 58000002
	ds_read_b128 a[92:95], v2 offset:1088                      // 0000000059EC: DBFE0440 5C000002
	v_fma_f32 v196, v12, v4, v196                              // 0000000059F4: D1CB00C4 0712090C
	v_fma_f32 v197, v13, v4, v197                              // 0000000059FC: D1CB00C5 0716090D
	v_fma_f32 v198, v14, v4, v198                              // 000000005A04: D1CB00C6 071A090E
	v_fma_f32 v199, v15, v4, v199                              // 000000005A0C: D1CB00C7 071E090F
	v_mfma_f32_16x16x32_fp8_fp8 v[12:15], a[184:185], a[8:9], 0// 000000005A14: D3F3000C 1A0211B8
	v_mfma_f32_16x16x32_fp8_fp8 v[12:15], a[186:187], a[10:11], v[12:15]// 000000005A1C: D3F3000C 1C3215BA
	buffer_load_dwordx4 a[172:175], v85, s[84:87], 0 offen offset:1024// 000000005A24: E05C1400 8095AC55
	v_mfma_f32_16x16x32_fp8_fp8 v[12:15], a[188:189], a[12:13], v[12:15]// 000000005A2C: D3F3000C 1C3219BC
	v_mfma_f32_16x16x32_fp8_fp8 v[12:15], a[190:191], a[14:15], v[12:15]// 000000005A34: D3F3000C 1C321DBE
	ds_read_b128 a[96:99], v2 offset:1536                      // 000000005A3C: DBFE0600 60000002
	ds_read_b128 a[100:103], v2 offset:1600                    // 000000005A44: DBFE0640 64000002
	v_fma_f32 v164, v8, v6, v164                               // 000000005A4C: D1CB00A4 06920D08
	v_fma_f32 v165, v9, v6, v165                               // 000000005A54: D1CB00A5 06960D09
	v_fma_f32 v166, v10, v6, v166                              // 000000005A5C: D1CB00A6 069A0D0A
	v_fma_f32 v167, v11, v6, v167                              // 000000005A64: D1CB00A7 069E0D0B
	v_mul_f32_dpp v4, v29, v59 row_newbcast:0 row_mask:0xf bank_mask:0xf// 000000005A6C: 0A0876FA FF01501D
	v_mfma_f32_16x16x32_fp8_fp8 v[8:11], a[176:177], a[16:17], 0// 000000005A74: D3F30008 1A0221B0
	v_mfma_f32_16x16x32_fp8_fp8 v[8:11], a[178:179], a[18:19], v[8:11]// 000000005A7C: D3F30008 1C2225B2
	v_mfma_f32_16x16x32_fp8_fp8 v[8:11], a[180:181], a[20:21], v[8:11]// 000000005A84: D3F30008 1C2229B4
	v_mfma_f32_16x16x32_fp8_fp8 v[8:11], a[182:183], a[22:23], v[8:11]// 000000005A8C: D3F30008 1C222DB6
	ds_read_b128 a[104:107], v2 offset:2048                    // 000000005A94: DBFE0800 68000002
	ds_read_b128 a[108:111], v2 offset:2112                    // 000000005A9C: DBFE0840 6C000002
	v_fma_f32 v200, v12, v6, v200                              // 000000005AA4: D1CB00C8 07220D0C
	v_fma_f32 v201, v13, v6, v201                              // 000000005AAC: D1CB00C9 07260D0D
	v_fma_f32 v202, v14, v6, v202                              // 000000005AB4: D1CB00CA 072A0D0E
	v_fma_f32 v203, v15, v6, v203                              // 000000005ABC: D1CB00CB 072E0D0F
	v_mfma_f32_16x16x32_fp8_fp8 v[12:15], a[184:185], a[16:17], 0// 000000005AC4: D3F3000C 1A0221B8
	v_mfma_f32_16x16x32_fp8_fp8 v[12:15], a[186:187], a[18:19], v[12:15]// 000000005ACC: D3F3000C 1C3225BA
	v_mfma_f32_16x16x32_fp8_fp8 v[12:15], a[188:189], a[20:21], v[12:15]// 000000005AD4: D3F3000C 1C3229BC
	v_mfma_f32_16x16x32_fp8_fp8 v[12:15], a[190:191], a[22:23], v[12:15]// 000000005ADC: D3F3000C 1C322DBE
	ds_read_b128 a[112:115], v2 offset:2560                    // 000000005AE4: DBFE0A00 70000002
	ds_read_b128 a[116:119], v2 offset:2624                    // 000000005AEC: DBFE0A40 74000002
	v_fma_f32 v168, v8, v4, v168                               // 000000005AF4: D1CB00A8 06A20908
	v_fma_f32 v169, v9, v4, v169                               // 000000005AFC: D1CB00A9 06A60909
	v_fma_f32 v170, v10, v4, v170                              // 000000005B04: D1CB00AA 06AA090A
	v_fma_f32 v171, v11, v4, v171                              // 000000005B0C: D1CB00AB 06AE090B
	v_mul_f32_dpp v6, v29, v60 row_newbcast:0 row_mask:0xf bank_mask:0xf// 000000005B14: 0A0C78FA FF01501D
	v_mfma_f32_16x16x32_fp8_fp8 v[8:11], a[176:177], a[24:25], 0// 000000005B1C: D3F30008 1A0231B0
	v_mfma_f32_16x16x32_fp8_fp8 v[8:11], a[178:179], a[26:27], v[8:11]// 000000005B24: D3F30008 1C2235B2
	v_mfma_f32_16x16x32_fp8_fp8 v[8:11], a[180:181], a[28:29], v[8:11]// 000000005B2C: D3F30008 1C2239B4
	v_mfma_f32_16x16x32_fp8_fp8 v[8:11], a[182:183], a[30:31], v[8:11]// 000000005B34: D3F30008 1C223DB6
	ds_read_b128 a[120:123], v2 offset:3072                    // 000000005B3C: DBFE0C00 78000002
	ds_read_b128 a[124:127], v2 offset:3136                    // 000000005B44: DBFE0C40 7C000002
	v_fma_f32 v204, v12, v4, v204                              // 000000005B4C: D1CB00CC 0732090C
	v_fma_f32 v205, v13, v4, v205                              // 000000005B54: D1CB00CD 0736090D
	v_fma_f32 v206, v14, v4, v206                              // 000000005B5C: D1CB00CE 073A090E
	v_fma_f32 v207, v15, v4, v207                              // 000000005B64: D1CB00CF 073E090F
	v_mfma_f32_16x16x32_fp8_fp8 v[12:15], a[184:185], a[24:25], 0// 000000005B6C: D3F3000C 1A0231B8
	v_mfma_f32_16x16x32_fp8_fp8 v[12:15], a[186:187], a[26:27], v[12:15]// 000000005B74: D3F3000C 1C3235BA
	v_mfma_f32_16x16x32_fp8_fp8 v[12:15], a[188:189], a[28:29], v[12:15]// 000000005B7C: D3F3000C 1C3239BC
	v_mfma_f32_16x16x32_fp8_fp8 v[12:15], a[190:191], a[30:31], v[12:15]// 000000005B84: D3F3000C 1C323DBE
	ds_read_b128 a[128:131], v2 offset:3584                    // 000000005B8C: DBFE0E00 80000002
	ds_read_b128 a[132:135], v2 offset:3648                    // 000000005B94: DBFE0E40 84000002
	v_fma_f32 v172, v8, v6, v172                               // 000000005B9C: D1CB00AC 06B20D08
	v_fma_f32 v173, v9, v6, v173                               // 000000005BA4: D1CB00AD 06B60D09
	v_fma_f32 v174, v10, v6, v174                              // 000000005BAC: D1CB00AE 06BA0D0A
	v_fma_f32 v175, v11, v6, v175                              // 000000005BB4: D1CB00AF 06BE0D0B
	v_mul_f32_dpp v4, v29, v61 row_newbcast:0 row_mask:0xf bank_mask:0xf// 000000005BBC: 0A087AFA FF01501D
	v_mfma_f32_16x16x32_fp8_fp8 v[8:11], a[176:177], a[32:33], 0// 000000005BC4: D3F30008 1A0241B0
	v_mfma_f32_16x16x32_fp8_fp8 v[8:11], a[178:179], a[34:35], v[8:11]// 000000005BCC: D3F30008 1C2245B2
	v_mfma_f32_16x16x32_fp8_fp8 v[8:11], a[180:181], a[36:37], v[8:11]// 000000005BD4: D3F30008 1C2249B4
	v_mfma_f32_16x16x32_fp8_fp8 v[8:11], a[182:183], a[38:39], v[8:11]// 000000005BDC: D3F30008 1C224DB6
	ds_read_b128 a[136:139], v2 offset:4096                    // 000000005BE4: DBFE1000 88000002
	ds_read_b128 a[140:143], v2 offset:4160                    // 000000005BEC: DBFE1040 8C000002
	v_fma_f32 v208, v12, v6, v208                              // 000000005BF4: D1CB00D0 07420D0C
	v_fma_f32 v209, v13, v6, v209                              // 000000005BFC: D1CB00D1 07460D0D
	v_fma_f32 v210, v14, v6, v210                              // 000000005C04: D1CB00D2 074A0D0E
	v_fma_f32 v211, v15, v6, v211                              // 000000005C0C: D1CB00D3 074E0D0F
	v_mfma_f32_16x16x32_fp8_fp8 v[12:15], a[184:185], a[32:33], 0// 000000005C14: D3F3000C 1A0241B8
	v_mfma_f32_16x16x32_fp8_fp8 v[12:15], a[186:187], a[34:35], v[12:15]// 000000005C1C: D3F3000C 1C3245BA
	v_mfma_f32_16x16x32_fp8_fp8 v[12:15], a[188:189], a[36:37], v[12:15]// 000000005C24: D3F3000C 1C3249BC
	v_mfma_f32_16x16x32_fp8_fp8 v[12:15], a[190:191], a[38:39], v[12:15]// 000000005C2C: D3F3000C 1C324DBE
	v_fma_f32 v176, v8, v4, v176                               // 000000005C34: D1CB00B0 06C20908
	v_fma_f32 v177, v9, v4, v177                               // 000000005C3C: D1CB00B1 06C60909
	v_fma_f32 v178, v10, v4, v178                              // 000000005C44: D1CB00B2 06CA090A
	v_fma_f32 v179, v11, v4, v179                              // 000000005C4C: D1CB00B3 06CE090B
	v_mul_f32_dpp v6, v29, v62 row_newbcast:0 row_mask:0xf bank_mask:0xf// 000000005C54: 0A0C7CFA FF01501D
	v_mfma_f32_16x16x32_fp8_fp8 v[8:11], a[176:177], a[40:41], 0// 000000005C5C: D3F30008 1A0251B0
	v_mfma_f32_16x16x32_fp8_fp8 v[8:11], a[178:179], a[42:43], v[8:11]// 000000005C64: D3F30008 1C2255B2
	v_mfma_f32_16x16x32_fp8_fp8 v[8:11], a[180:181], a[44:45], v[8:11]// 000000005C6C: D3F30008 1C2259B4
	v_mfma_f32_16x16x32_fp8_fp8 v[8:11], a[182:183], a[46:47], v[8:11]// 000000005C74: D3F30008 1C225DB6
	v_fma_f32 v212, v12, v4, v212                              // 000000005C7C: D1CB00D4 0752090C
	v_fma_f32 v213, v13, v4, v213                              // 000000005C84: D1CB00D5 0756090D
	v_fma_f32 v214, v14, v4, v214                              // 000000005C8C: D1CB00D6 075A090E
	v_fma_f32 v215, v15, v4, v215                              // 000000005C94: D1CB00D7 075E090F
	v_mfma_f32_16x16x32_fp8_fp8 v[12:15], a[184:185], a[40:41], 0// 000000005C9C: D3F3000C 1A0251B8
	v_mfma_f32_16x16x32_fp8_fp8 v[12:15], a[186:187], a[42:43], v[12:15]// 000000005CA4: D3F3000C 1C3255BA
	v_mfma_f32_16x16x32_fp8_fp8 v[12:15], a[188:189], a[44:45], v[12:15]// 000000005CAC: D3F3000C 1C3259BC
	v_mfma_f32_16x16x32_fp8_fp8 v[12:15], a[190:191], a[46:47], v[12:15]// 000000005CB4: D3F3000C 1C325DBE
	v_fma_f32 v180, v8, v6, v180                               // 000000005CBC: D1CB00B4 06D20D08
	v_fma_f32 v181, v9, v6, v181                               // 000000005CC4: D1CB00B5 06D60D09
	v_fma_f32 v182, v10, v6, v182                              // 000000005CCC: D1CB00B6 06DA0D0A
	v_fma_f32 v183, v11, v6, v183                              // 000000005CD4: D1CB00B7 06DE0D0B
	v_mul_f32_dpp v4, v29, v63 row_newbcast:0 row_mask:0xf bank_mask:0xf// 000000005CDC: 0A087EFA FF01501D
	v_mfma_f32_16x16x32_fp8_fp8 v[8:11], a[176:177], a[48:49], 0// 000000005CE4: D3F30008 1A0261B0
	v_mfma_f32_16x16x32_fp8_fp8 v[8:11], a[178:179], a[50:51], v[8:11]// 000000005CEC: D3F30008 1C2265B2
	v_mfma_f32_16x16x32_fp8_fp8 v[8:11], a[180:181], a[52:53], v[8:11]// 000000005CF4: D3F30008 1C2269B4
	v_mfma_f32_16x16x32_fp8_fp8 v[8:11], a[182:183], a[54:55], v[8:11]// 000000005CFC: D3F30008 1C226DB6
	v_fma_f32 v216, v12, v6, v216                              // 000000005D04: D1CB00D8 07620D0C
	v_fma_f32 v217, v13, v6, v217                              // 000000005D0C: D1CB00D9 07660D0D
	v_fma_f32 v218, v14, v6, v218                              // 000000005D14: D1CB00DA 076A0D0E
	v_fma_f32 v219, v15, v6, v219                              // 000000005D1C: D1CB00DB 076E0D0F
	v_mfma_f32_16x16x32_fp8_fp8 v[12:15], a[184:185], a[48:49], 0// 000000005D24: D3F3000C 1A0261B8
	v_mfma_f32_16x16x32_fp8_fp8 v[12:15], a[186:187], a[50:51], v[12:15]// 000000005D2C: D3F3000C 1C3265BA
	v_mfma_f32_16x16x32_fp8_fp8 v[12:15], a[188:189], a[52:53], v[12:15]// 000000005D34: D3F3000C 1C3269BC
	v_mfma_f32_16x16x32_fp8_fp8 v[12:15], a[190:191], a[54:55], v[12:15]// 000000005D3C: D3F3000C 1C326DBE
	v_fma_f32 v184, v8, v4, v184                               // 000000005D44: D1CB00B8 06E20908
	v_fma_f32 v185, v9, v4, v185                               // 000000005D4C: D1CB00B9 06E60909
	v_fma_f32 v186, v10, v4, v186                              // 000000005D54: D1CB00BA 06EA090A
	v_fma_f32 v187, v11, v4, v187                              // 000000005D5C: D1CB00BB 06EE090B
	v_mul_f32_dpp v6, v29, v64 row_newbcast:0 row_mask:0xf bank_mask:0xf// 000000005D64: 0A0C80FA FF01501D
	v_mfma_f32_16x16x32_fp8_fp8 v[8:11], a[176:177], a[56:57], 0// 000000005D6C: D3F30008 1A0271B0
	v_mfma_f32_16x16x32_fp8_fp8 v[8:11], a[178:179], a[58:59], v[8:11]// 000000005D74: D3F30008 1C2275B2
	v_mfma_f32_16x16x32_fp8_fp8 v[8:11], a[180:181], a[60:61], v[8:11]// 000000005D7C: D3F30008 1C2279B4
	v_mfma_f32_16x16x32_fp8_fp8 v[8:11], a[182:183], a[62:63], v[8:11]// 000000005D84: D3F30008 1C227DB6
	v_fma_f32 v220, v12, v4, v220                              // 000000005D8C: D1CB00DC 0772090C
	v_fma_f32 v221, v13, v4, v221                              // 000000005D94: D1CB00DD 0776090D
	v_fma_f32 v222, v14, v4, v222                              // 000000005D9C: D1CB00DE 077A090E
	v_fma_f32 v223, v15, v4, v223                              // 000000005DA4: D1CB00DF 077E090F
	v_mfma_f32_16x16x32_fp8_fp8 v[12:15], a[184:185], a[56:57], 0// 000000005DAC: D3F3000C 1A0271B8
	v_mfma_f32_16x16x32_fp8_fp8 v[12:15], a[186:187], a[58:59], v[12:15]// 000000005DB4: D3F3000C 1C3275BA
	v_mfma_f32_16x16x32_fp8_fp8 v[12:15], a[188:189], a[60:61], v[12:15]// 000000005DBC: D3F3000C 1C3279BC
	v_mfma_f32_16x16x32_fp8_fp8 v[12:15], a[190:191], a[62:63], v[12:15]// 000000005DC4: D3F3000C 1C327DBE
	v_fma_f32 v188, v8, v6, v188                               // 000000005DCC: D1CB00BC 06F20D08
	v_fma_f32 v189, v9, v6, v189                               // 000000005DD4: D1CB00BD 06F60D09
	v_fma_f32 v190, v10, v6, v190                              // 000000005DDC: D1CB00BE 06FA0D0A
	v_fma_f32 v191, v11, v6, v191                              // 000000005DE4: D1CB00BF 06FE0D0B
	v_mul_f32_dpp v4, v29, v65 row_newbcast:0 row_mask:0xf bank_mask:0xf// 000000005DEC: 0A0882FA FF01501D
	v_mfma_f32_16x16x32_fp8_fp8 v[8:11], a[176:177], a[64:65], 0// 000000005DF4: D3F30008 1A0281B0
	s_add_u32 s60, 0x180, s80                                  // 000000005DFC: 803C50FF 00000180
	s_cmp_lt_u32 s60, s81                                      // 000000005E04: BF0A513C
	s_cselect_b32 s57, s57, 0                                  // 000000005E08: 85398039
	s_cselect_b32 s3, s3, 0                                    // 000000005E0C: 85038003
	v_mfma_f32_16x16x32_fp8_fp8 v[8:11], a[178:179], a[66:67], v[8:11]// 000000005E10: D3F30008 1C2285B2
	s_add_u32 s60, 0x100, s80                                  // 000000005E18: 803C50FF 00000100
	s_cmp_lt_u32 s60, s81                                      // 000000005E20: BF0A513C
	s_cselect_b32 s58, s58, 0                                  // 000000005E24: 853A803A
	v_mfma_f32_16x16x32_fp8_fp8 v[8:11], a[180:181], a[68:69], v[8:11]// 000000005E28: D3F30008 1C2289B4
	s_add_u32 s60, 0x100, s80                                  // 000000005E30: 803C50FF 00000100
	s_cmp_lt_u32 s60, s81                                      // 000000005E38: BF0A513C
	s_cselect_b32 s83, s83, 0                                  // 000000005E3C: 85538053
	s_cselect_b32 s4, s4, 0                                    // 000000005E40: 85048004
	v_mfma_f32_16x16x32_fp8_fp8 v[8:11], a[182:183], a[70:71], v[8:11]// 000000005E44: D3F30008 1C228DB6
	s_add_u32 s24, s58, s24                                    // 000000005E4C: 8018183A
	s_addc_u32 s25, 0, s25                                     // 000000005E50: 82191980
	v_fma_f32 v224, v12, v6, v224                              // 000000005E54: D1CB00E0 07820D0C
	v_fma_f32 v225, v13, v6, v225                              // 000000005E5C: D1CB00E1 07860D0D
	v_fma_f32 v226, v14, v6, v226                              // 000000005E64: D1CB00E2 078A0D0E
	v_fma_f32 v227, v15, v6, v227                              // 000000005E6C: D1CB00E3 078E0D0F
	v_mfma_f32_16x16x32_fp8_fp8 v[12:15], a[184:185], a[64:65], 0// 000000005E74: D3F3000C 1A0281B8
	s_add_u32 s20, s57, s20                                    // 000000005E7C: 80141439
	s_addc_u32 s21, 0, s21                                     // 000000005E80: 82151580
	s_add_u32 s28, s3, s28                                     // 000000005E84: 801C1C03
	s_addc_u32 s29, 0, s29                                     // 000000005E88: 821D1D80
	v_mfma_f32_16x16x32_fp8_fp8 v[12:15], a[186:187], a[66:67], v[12:15]// 000000005E8C: D3F3000C 1C3285BA
	s_add_u32 s84, s83, s84                                    // 000000005E94: 80545453
	s_addc_u32 s85, 0, s85                                     // 000000005E98: 82555580
	v_mfma_f32_16x16x32_fp8_fp8 v[12:15], a[188:189], a[68:69], v[12:15]// 000000005E9C: D3F3000C 1C3289BC
	s_add_u32 s32, s4, s32                                     // 000000005EA4: 80202004
	s_addc_u32 s33, 0, s33                                     // 000000005EA8: 82212180
	v_mfma_f32_16x16x32_fp8_fp8 v[12:15], a[190:191], a[70:71], v[12:15]// 000000005EAC: D3F3000C 1C328DBE
	v_fma_f32 v192, v8, v4, v192                               // 000000005EB4: D1CB00C0 07020908
	v_fma_f32 v193, v9, v4, v193                               // 000000005EBC: D1CB00C1 07060909
	v_fma_f32 v194, v10, v4, v194                              // 000000005EC4: D1CB00C2 070A090A
	v_fma_f32 v195, v11, v4, v195                              // 000000005ECC: D1CB00C3 070E090B
	v_fma_f32 v228, v12, v4, v228                              // 000000005ED4: D1CB00E4 0792090C
	v_fma_f32 v229, v13, v4, v229                              // 000000005EDC: D1CB00E5 0796090D
	v_fma_f32 v230, v14, v4, v230                              // 000000005EE4: D1CB00E6 079A090E
	v_fma_f32 v231, v15, v4, v231                              // 000000005EEC: D1CB00E7 079E090F
	s_addk_i32 s80, 0x80                                       // 000000005EF4: B7500080
	s_cmp_lt_i32 s80, s81                                      // 000000005EF8: BF045150
	s_cbranch_scc0 label_167A                                  // 000000005EFC: BF84093A
	s_waitcnt vmcnt(32) lgkmcnt(0)                             // 000000005F00: BF8C8070
	v_mul_f32_dpp v4, v24, v39 row_newbcast:0 row_mask:0xf bank_mask:0xf// 000000005F04: 0A084EFA FF015018
	v_mfma_f32_16x16x32_fp8_fp8 v[8:11], a[144:145], a[72:73], 0// 000000005F0C: D3F30008 1A029190
	buffer_load_dword v25, v22, s[32:35], 0 offen              // 000000005F14: E0501000 80081916
	v_mfma_f32_16x16x32_fp8_fp8 v[8:11], a[146:147], a[74:75], v[8:11]// 000000005F1C: D3F30008 1C229592
	buffer_load_dwordx4 a[176:179], v84, s[24:27], 0 offen     // 000000005F24: E05C1000 8086B054
	v_mfma_f32_16x16x32_fp8_fp8 v[8:11], a[148:149], a[76:77], v[8:11]// 000000005F2C: D3F30008 1C229994
	v_mfma_f32_16x16x32_fp8_fp8 v[8:11], a[150:151], a[78:79], v[8:11]// 000000005F34: D3F30008 1C229D96
	v_mfma_f32_16x16x32_fp8_fp8 v[12:15], a[152:153], a[72:73], 0// 000000005F3C: D3F3000C 1A029198
	v_mfma_f32_16x16x32_fp8_fp8 v[12:15], a[154:155], a[74:75], v[12:15]// 000000005F44: D3F3000C 1C32959A
	buffer_load_dwordx4 a[180:183], v84, s[24:27], 0 offen offset:1024// 000000005F4C: E05C1400 8086B454
	v_mfma_f32_16x16x32_fp8_fp8 v[12:15], a[156:157], a[76:77], v[12:15]// 000000005F54: D3F3000C 1C32999C
	v_mfma_f32_16x16x32_fp8_fp8 v[12:15], a[158:159], a[78:79], v[12:15]// 000000005F5C: D3F3000C 1C329D9E
	v_fma_f32 v88, v8, v4, v88                                 // 000000005F64: D1CB0058 05620908
	v_fma_f32 v89, v9, v4, v89                                 // 000000005F6C: D1CB0059 05660909
	v_fma_f32 v90, v10, v4, v90                                // 000000005F74: D1CB005A 056A090A
	v_fma_f32 v91, v11, v4, v91                                // 000000005F7C: D1CB005B 056E090B
	v_mul_f32_dpp v6, v24, v40 row_newbcast:0 row_mask:0xf bank_mask:0xf// 000000005F84: 0A0C50FA FF015018
	v_mfma_f32_16x16x32_fp8_fp8 v[8:11], a[144:145], a[80:81], 0// 000000005F8C: D3F30008 1A02A190
	v_mfma_f32_16x16x32_fp8_fp8 v[8:11], a[146:147], a[82:83], v[8:11]// 000000005F94: D3F30008 1C22A592
	buffer_load_dwordx4 a[184:187], v85, s[24:27], 0 offen     // 000000005F9C: E05C1000 8086B855
	v_mfma_f32_16x16x32_fp8_fp8 v[8:11], a[148:149], a[84:85], v[8:11]// 000000005FA4: D3F30008 1C22A994
	v_mfma_f32_16x16x32_fp8_fp8 v[8:11], a[150:151], a[86:87], v[8:11]// 000000005FAC: D3F30008 1C22AD96
	v_fma_f32 v124, v12, v4, v124                              // 000000005FB4: D1CB007C 05F2090C
	v_fma_f32 v125, v13, v4, v125                              // 000000005FBC: D1CB007D 05F6090D
	v_fma_f32 v126, v14, v4, v126                              // 000000005FC4: D1CB007E 05FA090E
	v_fma_f32 v127, v15, v4, v127                              // 000000005FCC: D1CB007F 05FE090F
	v_mfma_f32_16x16x32_fp8_fp8 v[12:15], a[152:153], a[80:81], 0// 000000005FD4: D3F3000C 1A02A198
	v_mfma_f32_16x16x32_fp8_fp8 v[12:15], a[154:155], a[82:83], v[12:15]// 000000005FDC: D3F3000C 1C32A59A
	buffer_load_dwordx4 a[188:191], v85, s[24:27], 0 offen offset:1024// 000000005FE4: E05C1400 8086BC55
	buffer_load_dword v66, s[20:23], 0 offen lds               // 000000005FEC: E0511000 80050042
	s_add_u32 m0, 0x100, s50                                   // 000000005FF4: 807C32FF 00000100
	v_mfma_f32_16x16x32_fp8_fp8 v[12:15], a[156:157], a[84:85], v[12:15]// 000000005FFC: D3F3000C 1C32A99C
	v_mfma_f32_16x16x32_fp8_fp8 v[12:15], a[158:159], a[86:87], v[12:15]// 000000006004: D3F3000C 1C32AD9E
	buffer_load_dword v67, s[20:23], 0 offen lds               // 00000000600C: E0511000 80050043
	s_add_u32 m0, 0x200, s50                                   // 000000006014: 807C32FF 00000200
	v_fma_f32 v92, v8, v6, v92                                 // 00000000601C: D1CB005C 05720D08
	v_fma_f32 v93, v9, v6, v93                                 // 000000006024: D1CB005D 05760D09
	v_fma_f32 v94, v10, v6, v94                                // 00000000602C: D1CB005E 057A0D0A
	v_fma_f32 v95, v11, v6, v95                                // 000000006034: D1CB005F 057E0D0B
	v_mul_f32_dpp v4, v24, v41 row_newbcast:0 row_mask:0xf bank_mask:0xf// 00000000603C: 0A0852FA FF015018
	v_mfma_f32_16x16x32_fp8_fp8 v[8:11], a[144:145], a[88:89], 0// 000000006044: D3F30008 1A02B190
	v_mfma_f32_16x16x32_fp8_fp8 v[8:11], a[146:147], a[90:91], v[8:11]// 00000000604C: D3F30008 1C22B592
	buffer_load_dword v68, s[20:23], 0 offen lds               // 000000006054: E0511000 80050044
	s_add_u32 m0, 0x300, s50                                   // 00000000605C: 807C32FF 00000300
	v_mfma_f32_16x16x32_fp8_fp8 v[8:11], a[148:149], a[92:93], v[8:11]// 000000006064: D3F30008 1C22B994
	v_mfma_f32_16x16x32_fp8_fp8 v[8:11], a[150:151], a[94:95], v[8:11]// 00000000606C: D3F30008 1C22BD96
	buffer_load_dword v69, s[20:23], 0 offen lds               // 000000006074: E0511000 80050045
	s_add_u32 m0, 0x400, s50                                   // 00000000607C: 807C32FF 00000400
	v_fma_f32 v128, v12, v6, v128                              // 000000006084: D1CB0080 06020D0C
	v_fma_f32 v129, v13, v6, v129                              // 00000000608C: D1CB0081 06060D0D
	v_fma_f32 v130, v14, v6, v130                              // 000000006094: D1CB0082 060A0D0E
	v_fma_f32 v131, v15, v6, v131                              // 00000000609C: D1CB0083 060E0D0F
	v_mfma_f32_16x16x32_fp8_fp8 v[12:15], a[152:153], a[88:89], 0// 0000000060A4: D3F3000C 1A02B198
	v_mfma_f32_16x16x32_fp8_fp8 v[12:15], a[154:155], a[90:91], v[12:15]// 0000000060AC: D3F3000C 1C32B59A
	buffer_load_dword v70, s[20:23], 0 offen lds               // 0000000060B4: E0511000 80050046
	s_add_u32 m0, 0x500, s50                                   // 0000000060BC: 807C32FF 00000500
	v_mfma_f32_16x16x32_fp8_fp8 v[12:15], a[156:157], a[92:93], v[12:15]// 0000000060C4: D3F3000C 1C32B99C
	v_mfma_f32_16x16x32_fp8_fp8 v[12:15], a[158:159], a[94:95], v[12:15]// 0000000060CC: D3F3000C 1C32BD9E
	buffer_load_dword v71, s[20:23], 0 offen lds               // 0000000060D4: E0511000 80050047
	s_add_u32 m0, 0x600, s50                                   // 0000000060DC: 807C32FF 00000600
	v_fma_f32 v96, v8, v4, v96                                 // 0000000060E4: D1CB0060 05820908
	v_fma_f32 v97, v9, v4, v97                                 // 0000000060EC: D1CB0061 05860909
	v_fma_f32 v98, v10, v4, v98                                // 0000000060F4: D1CB0062 058A090A
	v_fma_f32 v99, v11, v4, v99                                // 0000000060FC: D1CB0063 058E090B
	v_mul_f32_dpp v6, v24, v42 row_newbcast:0 row_mask:0xf bank_mask:0xf// 000000006104: 0A0C54FA FF015018
	v_mfma_f32_16x16x32_fp8_fp8 v[8:11], a[144:145], a[96:97], 0// 00000000610C: D3F30008 1A02C190
	v_mfma_f32_16x16x32_fp8_fp8 v[8:11], a[146:147], a[98:99], v[8:11]// 000000006114: D3F30008 1C22C592
	buffer_load_dword v72, s[20:23], 0 offen lds               // 00000000611C: E0511000 80050048
	s_add_u32 m0, 0x700, s50                                   // 000000006124: 807C32FF 00000700
	v_mfma_f32_16x16x32_fp8_fp8 v[8:11], a[148:149], a[100:101], v[8:11]// 00000000612C: D3F30008 1C22C994
	v_mfma_f32_16x16x32_fp8_fp8 v[8:11], a[150:151], a[102:103], v[8:11]// 000000006134: D3F30008 1C22CD96
	buffer_load_dword v73, s[20:23], 0 offen lds               // 00000000613C: E0511000 80050049
	s_add_u32 m0, 0x800, s50                                   // 000000006144: 807C32FF 00000800
	v_fma_f32 v132, v12, v4, v132                              // 00000000614C: D1CB0084 0612090C
	v_fma_f32 v133, v13, v4, v133                              // 000000006154: D1CB0085 0616090D
	v_fma_f32 v134, v14, v4, v134                              // 00000000615C: D1CB0086 061A090E
	v_fma_f32 v135, v15, v4, v135                              // 000000006164: D1CB0087 061E090F
	v_mfma_f32_16x16x32_fp8_fp8 v[12:15], a[152:153], a[96:97], 0// 00000000616C: D3F3000C 1A02C198
	v_mfma_f32_16x16x32_fp8_fp8 v[12:15], a[154:155], a[98:99], v[12:15]// 000000006174: D3F3000C 1C32C59A
	buffer_load_dword v74, s[20:23], 0 offen lds               // 00000000617C: E0511000 8005004A
	s_add_u32 m0, 0x900, s50                                   // 000000006184: 807C32FF 00000900
	v_mfma_f32_16x16x32_fp8_fp8 v[12:15], a[156:157], a[100:101], v[12:15]// 00000000618C: D3F3000C 1C32C99C
	v_mfma_f32_16x16x32_fp8_fp8 v[12:15], a[158:159], a[102:103], v[12:15]// 000000006194: D3F3000C 1C32CD9E
	buffer_load_dword v75, s[20:23], 0 offen lds               // 00000000619C: E0511000 8005004B
	s_add_u32 m0, 0xa00, s50                                   // 0000000061A4: 807C32FF 00000A00
	v_fma_f32 v100, v8, v6, v100                               // 0000000061AC: D1CB0064 05920D08
	v_fma_f32 v101, v9, v6, v101                               // 0000000061B4: D1CB0065 05960D09
	v_fma_f32 v102, v10, v6, v102                              // 0000000061BC: D1CB0066 059A0D0A
	v_fma_f32 v103, v11, v6, v103                              // 0000000061C4: D1CB0067 059E0D0B
	v_mul_f32_dpp v4, v24, v43 row_newbcast:0 row_mask:0xf bank_mask:0xf// 0000000061CC: 0A0856FA FF015018
	v_mfma_f32_16x16x32_fp8_fp8 v[8:11], a[144:145], a[104:105], 0// 0000000061D4: D3F30008 1A02D190
	v_mfma_f32_16x16x32_fp8_fp8 v[8:11], a[146:147], a[106:107], v[8:11]// 0000000061DC: D3F30008 1C22D592
	buffer_load_dword v76, s[20:23], 0 offen lds               // 0000000061E4: E0511000 8005004C
	s_add_u32 m0, 0xb00, s50                                   // 0000000061EC: 807C32FF 00000B00
	v_mfma_f32_16x16x32_fp8_fp8 v[8:11], a[148:149], a[108:109], v[8:11]// 0000000061F4: D3F30008 1C22D994
	v_mfma_f32_16x16x32_fp8_fp8 v[8:11], a[150:151], a[110:111], v[8:11]// 0000000061FC: D3F30008 1C22DD96
	buffer_load_dword v77, s[20:23], 0 offen lds               // 000000006204: E0511000 8005004D
	s_add_u32 m0, 0xc00, s50                                   // 00000000620C: 807C32FF 00000C00
	v_fma_f32 v136, v12, v6, v136                              // 000000006214: D1CB0088 06220D0C
	v_fma_f32 v137, v13, v6, v137                              // 00000000621C: D1CB0089 06260D0D
	v_fma_f32 v138, v14, v6, v138                              // 000000006224: D1CB008A 062A0D0E
	v_fma_f32 v139, v15, v6, v139                              // 00000000622C: D1CB008B 062E0D0F
	v_mfma_f32_16x16x32_fp8_fp8 v[12:15], a[152:153], a[104:105], 0// 000000006234: D3F3000C 1A02D198
	v_mfma_f32_16x16x32_fp8_fp8 v[12:15], a[154:155], a[106:107], v[12:15]// 00000000623C: D3F3000C 1C32D59A
	buffer_load_dword v78, s[20:23], 0 offen lds               // 000000006244: E0511000 8005004E
	s_add_u32 m0, 0xd00, s50                                   // 00000000624C: 807C32FF 00000D00
	v_mfma_f32_16x16x32_fp8_fp8 v[12:15], a[156:157], a[108:109], v[12:15]// 000000006254: D3F3000C 1C32D99C
	v_mfma_f32_16x16x32_fp8_fp8 v[12:15], a[158:159], a[110:111], v[12:15]// 00000000625C: D3F3000C 1C32DD9E
	buffer_load_dword v79, s[20:23], 0 offen lds               // 000000006264: E0511000 8005004F
	s_add_u32 m0, 0xe00, s50                                   // 00000000626C: 807C32FF 00000E00
	v_fma_f32 v104, v8, v4, v104                               // 000000006274: D1CB0068 05A20908
	v_fma_f32 v105, v9, v4, v105                               // 00000000627C: D1CB0069 05A60909
	v_fma_f32 v106, v10, v4, v106                              // 000000006284: D1CB006A 05AA090A
	v_fma_f32 v107, v11, v4, v107                              // 00000000628C: D1CB006B 05AE090B
	v_mul_f32_dpp v6, v24, v44 row_newbcast:0 row_mask:0xf bank_mask:0xf// 000000006294: 0A0C58FA FF015018
	v_mfma_f32_16x16x32_fp8_fp8 v[8:11], a[144:145], a[112:113], 0// 00000000629C: D3F30008 1A02E190
	v_mfma_f32_16x16x32_fp8_fp8 v[8:11], a[146:147], a[114:115], v[8:11]// 0000000062A4: D3F30008 1C22E592
	buffer_load_dword v80, s[20:23], 0 offen lds               // 0000000062AC: E0511000 80050050
	s_add_u32 m0, 0xf00, s50                                   // 0000000062B4: 807C32FF 00000F00
	v_mfma_f32_16x16x32_fp8_fp8 v[8:11], a[148:149], a[116:117], v[8:11]// 0000000062BC: D3F30008 1C22E994
	v_mfma_f32_16x16x32_fp8_fp8 v[8:11], a[150:151], a[118:119], v[8:11]// 0000000062C4: D3F30008 1C22ED96
	buffer_load_dword v81, s[20:23], 0 offen lds               // 0000000062CC: E0511000 80050051
	s_add_u32 m0, 0x1000, s50                                  // 0000000062D4: 807C32FF 00001000
	v_fma_f32 v140, v12, v4, v140                              // 0000000062DC: D1CB008C 0632090C
	v_fma_f32 v141, v13, v4, v141                              // 0000000062E4: D1CB008D 0636090D
	v_fma_f32 v142, v14, v4, v142                              // 0000000062EC: D1CB008E 063A090E
	v_fma_f32 v143, v15, v4, v143                              // 0000000062F4: D1CB008F 063E090F
	v_mfma_f32_16x16x32_fp8_fp8 v[12:15], a[152:153], a[112:113], 0// 0000000062FC: D3F3000C 1A02E198
	v_mfma_f32_16x16x32_fp8_fp8 v[12:15], a[154:155], a[114:115], v[12:15]// 000000006304: D3F3000C 1C32E59A
	buffer_load_dword v82, s[20:23], 0 offen lds               // 00000000630C: E0511000 80050052
	s_add_u32 m0, 0x1100, s50                                  // 000000006314: 807C32FF 00001100
	v_mfma_f32_16x16x32_fp8_fp8 v[12:15], a[156:157], a[116:117], v[12:15]// 00000000631C: D3F3000C 1C32E99C
	v_mfma_f32_16x16x32_fp8_fp8 v[12:15], a[158:159], a[118:119], v[12:15]// 000000006324: D3F3000C 1C32ED9E
	buffer_load_dword v83, s[20:23], 0 offen lds               // 00000000632C: E0511000 80050053
	s_add_u32 m0, 0, s48                                       // 000000006334: 807C3080
	v_fma_f32 v108, v8, v6, v108                               // 000000006338: D1CB006C 05B20D08
	v_fma_f32 v109, v9, v6, v109                               // 000000006340: D1CB006D 05B60D09
	v_fma_f32 v110, v10, v6, v110                              // 000000006348: D1CB006E 05BA0D0A
	v_fma_f32 v111, v11, v6, v111                              // 000000006350: D1CB006F 05BE0D0B
	v_mul_f32_dpp v4, v24, v45 row_newbcast:0 row_mask:0xf bank_mask:0xf// 000000006358: 0A085AFA FF015018
	v_mfma_f32_16x16x32_fp8_fp8 v[8:11], a[144:145], a[120:121], 0// 000000006360: D3F30008 1A02F190
	v_mfma_f32_16x16x32_fp8_fp8 v[8:11], a[146:147], a[122:123], v[8:11]// 000000006368: D3F30008 1C22F592
	buffer_load_dword v57, v30, s[28:31], 0 offen              // 000000006370: E0501000 8007391E
	v_mfma_f32_16x16x32_fp8_fp8 v[8:11], a[148:149], a[124:125], v[8:11]// 000000006378: D3F30008 1C22F994
	v_mfma_f32_16x16x32_fp8_fp8 v[8:11], a[150:151], a[126:127], v[8:11]// 000000006380: D3F30008 1C22FD96
	buffer_load_dword v58, v31, s[28:31], 0 offen              // 000000006388: E0501000 80073A1F
	v_fma_f32 v144, v12, v6, v144                              // 000000006390: D1CB0090 06420D0C
	v_fma_f32 v145, v13, v6, v145                              // 000000006398: D1CB0091 06460D0D
	v_fma_f32 v146, v14, v6, v146                              // 0000000063A0: D1CB0092 064A0D0E
	v_fma_f32 v147, v15, v6, v147                              // 0000000063A8: D1CB0093 064E0D0F
	v_mfma_f32_16x16x32_fp8_fp8 v[12:15], a[152:153], a[120:121], 0// 0000000063B0: D3F3000C 1A02F198
	v_mfma_f32_16x16x32_fp8_fp8 v[12:15], a[154:155], a[122:123], v[12:15]// 0000000063B8: D3F3000C 1C32F59A
	buffer_load_dword v59, v32, s[28:31], 0 offen              // 0000000063C0: E0501000 80073B20
	v_mfma_f32_16x16x32_fp8_fp8 v[12:15], a[156:157], a[124:125], v[12:15]// 0000000063C8: D3F3000C 1C32F99C
	v_mfma_f32_16x16x32_fp8_fp8 v[12:15], a[158:159], a[126:127], v[12:15]// 0000000063D0: D3F3000C 1C32FD9E
	buffer_load_dword v60, v33, s[28:31], 0 offen              // 0000000063D8: E0501000 80073C21
	v_fma_f32 v112, v8, v4, v112                               // 0000000063E0: D1CB0070 05C20908
	v_fma_f32 v113, v9, v4, v113                               // 0000000063E8: D1CB0071 05C60909
	v_fma_f32 v114, v10, v4, v114                              // 0000000063F0: D1CB0072 05CA090A
	v_fma_f32 v115, v11, v4, v115                              // 0000000063F8: D1CB0073 05CE090B
	v_mul_f32_dpp v6, v24, v46 row_newbcast:0 row_mask:0xf bank_mask:0xf// 000000006400: 0A0C5CFA FF015018
	v_mfma_f32_16x16x32_fp8_fp8 v[8:11], a[144:145], a[128:129], 0// 000000006408: D3F30008 1A030190
	v_mfma_f32_16x16x32_fp8_fp8 v[8:11], a[146:147], a[130:131], v[8:11]// 000000006410: D3F30008 1C230592
	buffer_load_dword v61, v34, s[28:31], 0 offen              // 000000006418: E0501000 80073D22
	v_mfma_f32_16x16x32_fp8_fp8 v[8:11], a[148:149], a[132:133], v[8:11]// 000000006420: D3F30008 1C230994
	v_mfma_f32_16x16x32_fp8_fp8 v[8:11], a[150:151], a[134:135], v[8:11]// 000000006428: D3F30008 1C230D96
	buffer_load_dword v62, v35, s[28:31], 0 offen              // 000000006430: E0501000 80073E23
	v_fma_f32 v148, v12, v4, v148                              // 000000006438: D1CB0094 0652090C
	v_fma_f32 v149, v13, v4, v149                              // 000000006440: D1CB0095 0656090D
	v_fma_f32 v150, v14, v4, v150                              // 000000006448: D1CB0096 065A090E
	v_fma_f32 v151, v15, v4, v151                              // 000000006450: D1CB0097 065E090F
	v_mfma_f32_16x16x32_fp8_fp8 v[12:15], a[152:153], a[128:129], 0// 000000006458: D3F3000C 1A030198
	v_mfma_f32_16x16x32_fp8_fp8 v[12:15], a[154:155], a[130:131], v[12:15]// 000000006460: D3F3000C 1C33059A
	buffer_load_dword v63, v36, s[28:31], 0 offen              // 000000006468: E0501000 80073F24
	v_mfma_f32_16x16x32_fp8_fp8 v[12:15], a[156:157], a[132:133], v[12:15]// 000000006470: D3F3000C 1C33099C
	v_mfma_f32_16x16x32_fp8_fp8 v[12:15], a[158:159], a[134:135], v[12:15]// 000000006478: D3F3000C 1C330D9E
	buffer_load_dword v64, v37, s[28:31], 0 offen              // 000000006480: E0501000 80074025
	v_fma_f32 v116, v8, v6, v116                               // 000000006488: D1CB0074 05D20D08
	v_fma_f32 v117, v9, v6, v117                               // 000000006490: D1CB0075 05D60D09
	v_fma_f32 v118, v10, v6, v118                              // 000000006498: D1CB0076 05DA0D0A
	v_fma_f32 v119, v11, v6, v119                              // 0000000064A0: D1CB0077 05DE0D0B
	v_mul_f32_dpp v4, v24, v47 row_newbcast:0 row_mask:0xf bank_mask:0xf// 0000000064A8: 0A085EFA FF015018
	v_mfma_f32_16x16x32_fp8_fp8 v[8:11], a[144:145], a[136:137], 0// 0000000064B0: D3F30008 1A031190
	v_mfma_f32_16x16x32_fp8_fp8 v[8:11], a[146:147], a[138:139], v[8:11]// 0000000064B8: D3F30008 1C231592
	buffer_load_dword v65, v38, s[28:31], 0 offen              // 0000000064C0: E0501000 80074126
	v_mfma_f32_16x16x32_fp8_fp8 v[8:11], a[148:149], a[140:141], v[8:11]// 0000000064C8: D3F30008 1C231994
	v_mfma_f32_16x16x32_fp8_fp8 v[8:11], a[150:151], a[142:143], v[8:11]// 0000000064D0: D3F30008 1C231D96
	v_fma_f32 v152, v12, v6, v152                              // 0000000064D8: D1CB0098 06620D0C
	v_fma_f32 v153, v13, v6, v153                              // 0000000064E0: D1CB0099 06660D0D
	v_fma_f32 v154, v14, v6, v154                              // 0000000064E8: D1CB009A 066A0D0E
	v_fma_f32 v155, v15, v6, v155                              // 0000000064F0: D1CB009B 066E0D0F
	v_mfma_f32_16x16x32_fp8_fp8 v[12:15], a[152:153], a[136:137], 0// 0000000064F8: D3F3000C 1A031198
	v_mfma_f32_16x16x32_fp8_fp8 v[12:15], a[154:155], a[138:139], v[12:15]// 000000006500: D3F3000C 1C33159A
	v_mfma_f32_16x16x32_fp8_fp8 v[12:15], a[156:157], a[140:141], v[12:15]// 000000006508: D3F3000C 1C33199C
	v_mfma_f32_16x16x32_fp8_fp8 v[12:15], a[158:159], a[142:143], v[12:15]// 000000006510: D3F3000C 1C331D9E
	v_fma_f32 v120, v8, v4, v120                               // 000000006518: D1CB0078 05E20908
	v_fma_f32 v121, v9, v4, v121                               // 000000006520: D1CB0079 05E60909
	v_fma_f32 v122, v10, v4, v122                              // 000000006528: D1CB007A 05EA090A
	v_fma_f32 v123, v11, v4, v123                              // 000000006530: D1CB007B 05EE090B
	v_fma_f32 v156, v12, v4, v156                              // 000000006538: D1CB009C 0672090C
	v_fma_f32 v157, v13, v4, v157                              // 000000006540: D1CB009D 0676090D
	v_fma_f32 v158, v14, v4, v158                              // 000000006548: D1CB009E 067A090E
	v_fma_f32 v159, v15, v4, v159                              // 000000006550: D1CB009F 067E090F
	s_waitcnt vmcnt(32)                                        // 000000006558: BF8C8F70
	s_barrier                                                  // 00000000655C: BF8A0000
	v_mul_f32_dpp v4, v27, v39 row_newbcast:0 row_mask:0xf bank_mask:0xf// 000000006560: 0A084EFA FF01501B
	v_mfma_f32_16x16x32_fp8_fp8 v[8:11], a[160:161], a[72:73], 0// 000000006568: D3F30008 1A0291A0
	buffer_load_dword v28, v23, s[32:35], 0 offen              // 000000006570: E0501000 80081C17
	v_mfma_f32_16x16x32_fp8_fp8 v[8:11], a[162:163], a[74:75], v[8:11]// 000000006578: D3F30008 1C2295A2
	buffer_load_dwordx4 a[144:147], v84, s[84:87], 0 offen     // 000000006580: E05C1000 80959054
	v_mfma_f32_16x16x32_fp8_fp8 v[8:11], a[164:165], a[76:77], v[8:11]// 000000006588: D3F30008 1C2299A4
	v_mfma_f32_16x16x32_fp8_fp8 v[8:11], a[166:167], a[78:79], v[8:11]// 000000006590: D3F30008 1C229DA6
	ds_read_b128 a[0:3], v2 offset:18560                       // 000000006598: DBFE4880 00000002
	ds_read_b128 a[4:7], v2 offset:18624                       // 0000000065A0: DBFE48C0 04000002
	v_mfma_f32_16x16x32_fp8_fp8 v[12:15], a[168:169], a[72:73], 0// 0000000065A8: D3F3000C 1A0291A8
	v_mfma_f32_16x16x32_fp8_fp8 v[12:15], a[170:171], a[74:75], v[12:15]// 0000000065B0: D3F3000C 1C3295AA
	buffer_load_dwordx4 a[148:151], v84, s[84:87], 0 offen offset:1024// 0000000065B8: E05C1400 80959454
	v_mfma_f32_16x16x32_fp8_fp8 v[12:15], a[172:173], a[76:77], v[12:15]// 0000000065C0: D3F3000C 1C3299AC
	v_mfma_f32_16x16x32_fp8_fp8 v[12:15], a[174:175], a[78:79], v[12:15]// 0000000065C8: D3F3000C 1C329DAE
	ds_read_b128 a[8:11], v2 offset:19072                      // 0000000065D0: DBFE4A80 08000002
	ds_read_b128 a[12:15], v2 offset:19136                     // 0000000065D8: DBFE4AC0 0C000002
	v_fma_f32 v160, v8, v4, v160                               // 0000000065E0: D1CB00A0 06820908
	v_fma_f32 v161, v9, v4, v161                               // 0000000065E8: D1CB00A1 06860909
	v_fma_f32 v162, v10, v4, v162                              // 0000000065F0: D1CB00A2 068A090A
	v_fma_f32 v163, v11, v4, v163                              // 0000000065F8: D1CB00A3 068E090B
	v_mul_f32_dpp v6, v27, v40 row_newbcast:0 row_mask:0xf bank_mask:0xf// 000000006600: 0A0C50FA FF01501B
	v_mfma_f32_16x16x32_fp8_fp8 v[8:11], a[160:161], a[80:81], 0// 000000006608: D3F30008 1A02A1A0
	v_mfma_f32_16x16x32_fp8_fp8 v[8:11], a[162:163], a[82:83], v[8:11]// 000000006610: D3F30008 1C22A5A2
	buffer_load_dwordx4 a[152:155], v85, s[84:87], 0 offen     // 000000006618: E05C1000 80959855
	v_mfma_f32_16x16x32_fp8_fp8 v[8:11], a[164:165], a[84:85], v[8:11]// 000000006620: D3F30008 1C22A9A4
	v_mfma_f32_16x16x32_fp8_fp8 v[8:11], a[166:167], a[86:87], v[8:11]// 000000006628: D3F30008 1C22ADA6
	ds_read_b128 a[16:19], v2 offset:19584                     // 000000006630: DBFE4C80 10000002
	ds_read_b128 a[20:23], v2 offset:19648                     // 000000006638: DBFE4CC0 14000002
	v_fma_f32 v196, v12, v4, v196                              // 000000006640: D1CB00C4 0712090C
	v_fma_f32 v197, v13, v4, v197                              // 000000006648: D1CB00C5 0716090D
	v_fma_f32 v198, v14, v4, v198                              // 000000006650: D1CB00C6 071A090E
	v_fma_f32 v199, v15, v4, v199                              // 000000006658: D1CB00C7 071E090F
	v_mfma_f32_16x16x32_fp8_fp8 v[12:15], a[168:169], a[80:81], 0// 000000006660: D3F3000C 1A02A1A8
	v_mfma_f32_16x16x32_fp8_fp8 v[12:15], a[170:171], a[82:83], v[12:15]// 000000006668: D3F3000C 1C32A5AA
	buffer_load_dwordx4 a[156:159], v85, s[84:87], 0 offen offset:1024// 000000006670: E05C1400 80959C55
	v_mfma_f32_16x16x32_fp8_fp8 v[12:15], a[172:173], a[84:85], v[12:15]// 000000006678: D3F3000C 1C32A9AC
	v_mfma_f32_16x16x32_fp8_fp8 v[12:15], a[174:175], a[86:87], v[12:15]// 000000006680: D3F3000C 1C32ADAE
	ds_read_b128 a[24:27], v2 offset:20096                     // 000000006688: DBFE4E80 18000002
	ds_read_b128 a[28:31], v2 offset:20160                     // 000000006690: DBFE4EC0 1C000002
	v_fma_f32 v164, v8, v6, v164                               // 000000006698: D1CB00A4 06920D08
	v_fma_f32 v165, v9, v6, v165                               // 0000000066A0: D1CB00A5 06960D09
	v_fma_f32 v166, v10, v6, v166                              // 0000000066A8: D1CB00A6 069A0D0A
	v_fma_f32 v167, v11, v6, v167                              // 0000000066B0: D1CB00A7 069E0D0B
	v_mul_f32_dpp v4, v27, v41 row_newbcast:0 row_mask:0xf bank_mask:0xf// 0000000066B8: 0A0852FA FF01501B
	v_mfma_f32_16x16x32_fp8_fp8 v[8:11], a[160:161], a[88:89], 0// 0000000066C0: D3F30008 1A02B1A0
	v_mfma_f32_16x16x32_fp8_fp8 v[8:11], a[162:163], a[90:91], v[8:11]// 0000000066C8: D3F30008 1C22B5A2
	v_mfma_f32_16x16x32_fp8_fp8 v[8:11], a[164:165], a[92:93], v[8:11]// 0000000066D0: D3F30008 1C22B9A4
	v_mfma_f32_16x16x32_fp8_fp8 v[8:11], a[166:167], a[94:95], v[8:11]// 0000000066D8: D3F30008 1C22BDA6
	ds_read_b128 a[32:35], v2 offset:20608                     // 0000000066E0: DBFE5080 20000002
	ds_read_b128 a[36:39], v2 offset:20672                     // 0000000066E8: DBFE50C0 24000002
	v_fma_f32 v200, v12, v6, v200                              // 0000000066F0: D1CB00C8 07220D0C
	v_fma_f32 v201, v13, v6, v201                              // 0000000066F8: D1CB00C9 07260D0D
	v_fma_f32 v202, v14, v6, v202                              // 000000006700: D1CB00CA 072A0D0E
	v_fma_f32 v203, v15, v6, v203                              // 000000006708: D1CB00CB 072E0D0F
	v_mfma_f32_16x16x32_fp8_fp8 v[12:15], a[168:169], a[88:89], 0// 000000006710: D3F3000C 1A02B1A8
	v_mfma_f32_16x16x32_fp8_fp8 v[12:15], a[170:171], a[90:91], v[12:15]// 000000006718: D3F3000C 1C32B5AA
	v_mfma_f32_16x16x32_fp8_fp8 v[12:15], a[172:173], a[92:93], v[12:15]// 000000006720: D3F3000C 1C32B9AC
	v_mfma_f32_16x16x32_fp8_fp8 v[12:15], a[174:175], a[94:95], v[12:15]// 000000006728: D3F3000C 1C32BDAE
	ds_read_b128 a[40:43], v2 offset:21120                     // 000000006730: DBFE5280 28000002
	ds_read_b128 a[44:47], v2 offset:21184                     // 000000006738: DBFE52C0 2C000002
	v_fma_f32 v168, v8, v4, v168                               // 000000006740: D1CB00A8 06A20908
	v_fma_f32 v169, v9, v4, v169                               // 000000006748: D1CB00A9 06A60909
	v_fma_f32 v170, v10, v4, v170                              // 000000006750: D1CB00AA 06AA090A
	v_fma_f32 v171, v11, v4, v171                              // 000000006758: D1CB00AB 06AE090B
	v_mul_f32_dpp v6, v27, v42 row_newbcast:0 row_mask:0xf bank_mask:0xf// 000000006760: 0A0C54FA FF01501B
	v_mfma_f32_16x16x32_fp8_fp8 v[8:11], a[160:161], a[96:97], 0// 000000006768: D3F30008 1A02C1A0
	v_mfma_f32_16x16x32_fp8_fp8 v[8:11], a[162:163], a[98:99], v[8:11]// 000000006770: D3F30008 1C22C5A2
	v_mfma_f32_16x16x32_fp8_fp8 v[8:11], a[164:165], a[100:101], v[8:11]// 000000006778: D3F30008 1C22C9A4
	v_mfma_f32_16x16x32_fp8_fp8 v[8:11], a[166:167], a[102:103], v[8:11]// 000000006780: D3F30008 1C22CDA6
	ds_read_b128 a[48:51], v2 offset:21632                     // 000000006788: DBFE5480 30000002
	ds_read_b128 a[52:55], v2 offset:21696                     // 000000006790: DBFE54C0 34000002
	v_fma_f32 v204, v12, v4, v204                              // 000000006798: D1CB00CC 0732090C
	v_fma_f32 v205, v13, v4, v205                              // 0000000067A0: D1CB00CD 0736090D
	v_fma_f32 v206, v14, v4, v206                              // 0000000067A8: D1CB00CE 073A090E
	v_fma_f32 v207, v15, v4, v207                              // 0000000067B0: D1CB00CF 073E090F
	v_mfma_f32_16x16x32_fp8_fp8 v[12:15], a[168:169], a[96:97], 0// 0000000067B8: D3F3000C 1A02C1A8
	v_mfma_f32_16x16x32_fp8_fp8 v[12:15], a[170:171], a[98:99], v[12:15]// 0000000067C0: D3F3000C 1C32C5AA
	v_mfma_f32_16x16x32_fp8_fp8 v[12:15], a[172:173], a[100:101], v[12:15]// 0000000067C8: D3F3000C 1C32C9AC
	v_mfma_f32_16x16x32_fp8_fp8 v[12:15], a[174:175], a[102:103], v[12:15]// 0000000067D0: D3F3000C 1C32CDAE
	ds_read_b128 a[56:59], v2 offset:22144                     // 0000000067D8: DBFE5680 38000002
	ds_read_b128 a[60:63], v2 offset:22208                     // 0000000067E0: DBFE56C0 3C000002
	v_fma_f32 v172, v8, v6, v172                               // 0000000067E8: D1CB00AC 06B20D08
	v_fma_f32 v173, v9, v6, v173                               // 0000000067F0: D1CB00AD 06B60D09
	v_fma_f32 v174, v10, v6, v174                              // 0000000067F8: D1CB00AE 06BA0D0A
	v_fma_f32 v175, v11, v6, v175                              // 000000006800: D1CB00AF 06BE0D0B
	v_mul_f32_dpp v4, v27, v43 row_newbcast:0 row_mask:0xf bank_mask:0xf// 000000006808: 0A0856FA FF01501B
	v_mfma_f32_16x16x32_fp8_fp8 v[8:11], a[160:161], a[104:105], 0// 000000006810: D3F30008 1A02D1A0
	v_mfma_f32_16x16x32_fp8_fp8 v[8:11], a[162:163], a[106:107], v[8:11]// 000000006818: D3F30008 1C22D5A2
	v_mfma_f32_16x16x32_fp8_fp8 v[8:11], a[164:165], a[108:109], v[8:11]// 000000006820: D3F30008 1C22D9A4
	v_mfma_f32_16x16x32_fp8_fp8 v[8:11], a[166:167], a[110:111], v[8:11]// 000000006828: D3F30008 1C22DDA6
	ds_read_b128 a[64:67], v2 offset:22656                     // 000000006830: DBFE5880 40000002
	ds_read_b128 a[68:71], v2 offset:22720                     // 000000006838: DBFE58C0 44000002
	v_fma_f32 v208, v12, v6, v208                              // 000000006840: D1CB00D0 07420D0C
	v_fma_f32 v209, v13, v6, v209                              // 000000006848: D1CB00D1 07460D0D
	v_fma_f32 v210, v14, v6, v210                              // 000000006850: D1CB00D2 074A0D0E
	v_fma_f32 v211, v15, v6, v211                              // 000000006858: D1CB00D3 074E0D0F
	v_mfma_f32_16x16x32_fp8_fp8 v[12:15], a[168:169], a[104:105], 0// 000000006860: D3F3000C 1A02D1A8
	v_mfma_f32_16x16x32_fp8_fp8 v[12:15], a[170:171], a[106:107], v[12:15]// 000000006868: D3F3000C 1C32D5AA
	v_mfma_f32_16x16x32_fp8_fp8 v[12:15], a[172:173], a[108:109], v[12:15]// 000000006870: D3F3000C 1C32D9AC
	v_mfma_f32_16x16x32_fp8_fp8 v[12:15], a[174:175], a[110:111], v[12:15]// 000000006878: D3F3000C 1C32DDAE
	v_fma_f32 v176, v8, v4, v176                               // 000000006880: D1CB00B0 06C20908
	v_fma_f32 v177, v9, v4, v177                               // 000000006888: D1CB00B1 06C60909
	v_fma_f32 v178, v10, v4, v178                              // 000000006890: D1CB00B2 06CA090A
	v_fma_f32 v179, v11, v4, v179                              // 000000006898: D1CB00B3 06CE090B
	v_mul_f32_dpp v6, v27, v44 row_newbcast:0 row_mask:0xf bank_mask:0xf// 0000000068A0: 0A0C58FA FF01501B
	v_mfma_f32_16x16x32_fp8_fp8 v[8:11], a[160:161], a[112:113], 0// 0000000068A8: D3F30008 1A02E1A0
	v_mfma_f32_16x16x32_fp8_fp8 v[8:11], a[162:163], a[114:115], v[8:11]// 0000000068B0: D3F30008 1C22E5A2
	v_mfma_f32_16x16x32_fp8_fp8 v[8:11], a[164:165], a[116:117], v[8:11]// 0000000068B8: D3F30008 1C22E9A4
	v_mfma_f32_16x16x32_fp8_fp8 v[8:11], a[166:167], a[118:119], v[8:11]// 0000000068C0: D3F30008 1C22EDA6
	v_fma_f32 v212, v12, v4, v212                              // 0000000068C8: D1CB00D4 0752090C
	v_fma_f32 v213, v13, v4, v213                              // 0000000068D0: D1CB00D5 0756090D
	v_fma_f32 v214, v14, v4, v214                              // 0000000068D8: D1CB00D6 075A090E
	v_fma_f32 v215, v15, v4, v215                              // 0000000068E0: D1CB00D7 075E090F
	v_mfma_f32_16x16x32_fp8_fp8 v[12:15], a[168:169], a[112:113], 0// 0000000068E8: D3F3000C 1A02E1A8
	v_mfma_f32_16x16x32_fp8_fp8 v[12:15], a[170:171], a[114:115], v[12:15]// 0000000068F0: D3F3000C 1C32E5AA
	v_mfma_f32_16x16x32_fp8_fp8 v[12:15], a[172:173], a[116:117], v[12:15]// 0000000068F8: D3F3000C 1C32E9AC
	v_mfma_f32_16x16x32_fp8_fp8 v[12:15], a[174:175], a[118:119], v[12:15]// 000000006900: D3F3000C 1C32EDAE
	v_fma_f32 v180, v8, v6, v180                               // 000000006908: D1CB00B4 06D20D08
	v_fma_f32 v181, v9, v6, v181                               // 000000006910: D1CB00B5 06D60D09
	v_fma_f32 v182, v10, v6, v182                              // 000000006918: D1CB00B6 06DA0D0A
	v_fma_f32 v183, v11, v6, v183                              // 000000006920: D1CB00B7 06DE0D0B
	v_mul_f32_dpp v4, v27, v45 row_newbcast:0 row_mask:0xf bank_mask:0xf// 000000006928: 0A085AFA FF01501B
	v_mfma_f32_16x16x32_fp8_fp8 v[8:11], a[160:161], a[120:121], 0// 000000006930: D3F30008 1A02F1A0
	v_mfma_f32_16x16x32_fp8_fp8 v[8:11], a[162:163], a[122:123], v[8:11]// 000000006938: D3F30008 1C22F5A2
	v_mfma_f32_16x16x32_fp8_fp8 v[8:11], a[164:165], a[124:125], v[8:11]// 000000006940: D3F30008 1C22F9A4
	v_mfma_f32_16x16x32_fp8_fp8 v[8:11], a[166:167], a[126:127], v[8:11]// 000000006948: D3F30008 1C22FDA6
	v_fma_f32 v216, v12, v6, v216                              // 000000006950: D1CB00D8 07620D0C
	v_fma_f32 v217, v13, v6, v217                              // 000000006958: D1CB00D9 07660D0D
	v_fma_f32 v218, v14, v6, v218                              // 000000006960: D1CB00DA 076A0D0E
	v_fma_f32 v219, v15, v6, v219                              // 000000006968: D1CB00DB 076E0D0F
	v_mfma_f32_16x16x32_fp8_fp8 v[12:15], a[168:169], a[120:121], 0// 000000006970: D3F3000C 1A02F1A8
	v_mfma_f32_16x16x32_fp8_fp8 v[12:15], a[170:171], a[122:123], v[12:15]// 000000006978: D3F3000C 1C32F5AA
	v_mfma_f32_16x16x32_fp8_fp8 v[12:15], a[172:173], a[124:125], v[12:15]// 000000006980: D3F3000C 1C32F9AC
	v_mfma_f32_16x16x32_fp8_fp8 v[12:15], a[174:175], a[126:127], v[12:15]// 000000006988: D3F3000C 1C32FDAE
	v_fma_f32 v184, v8, v4, v184                               // 000000006990: D1CB00B8 06E20908
	v_fma_f32 v185, v9, v4, v185                               // 000000006998: D1CB00B9 06E60909
	v_fma_f32 v186, v10, v4, v186                              // 0000000069A0: D1CB00BA 06EA090A
	v_fma_f32 v187, v11, v4, v187                              // 0000000069A8: D1CB00BB 06EE090B
	v_mul_f32_dpp v6, v27, v46 row_newbcast:0 row_mask:0xf bank_mask:0xf// 0000000069B0: 0A0C5CFA FF01501B
	v_mfma_f32_16x16x32_fp8_fp8 v[8:11], a[160:161], a[128:129], 0// 0000000069B8: D3F30008 1A0301A0
	v_mfma_f32_16x16x32_fp8_fp8 v[8:11], a[162:163], a[130:131], v[8:11]// 0000000069C0: D3F30008 1C2305A2
	v_mfma_f32_16x16x32_fp8_fp8 v[8:11], a[164:165], a[132:133], v[8:11]// 0000000069C8: D3F30008 1C2309A4
	v_mfma_f32_16x16x32_fp8_fp8 v[8:11], a[166:167], a[134:135], v[8:11]// 0000000069D0: D3F30008 1C230DA6
	v_fma_f32 v220, v12, v4, v220                              // 0000000069D8: D1CB00DC 0772090C
	v_fma_f32 v221, v13, v4, v221                              // 0000000069E0: D1CB00DD 0776090D
	v_fma_f32 v222, v14, v4, v222                              // 0000000069E8: D1CB00DE 077A090E
	v_fma_f32 v223, v15, v4, v223                              // 0000000069F0: D1CB00DF 077E090F
	v_mfma_f32_16x16x32_fp8_fp8 v[12:15], a[168:169], a[128:129], 0// 0000000069F8: D3F3000C 1A0301A8
	v_mfma_f32_16x16x32_fp8_fp8 v[12:15], a[170:171], a[130:131], v[12:15]// 000000006A00: D3F3000C 1C3305AA
	v_mfma_f32_16x16x32_fp8_fp8 v[12:15], a[172:173], a[132:133], v[12:15]// 000000006A08: D3F3000C 1C3309AC
	v_mfma_f32_16x16x32_fp8_fp8 v[12:15], a[174:175], a[134:135], v[12:15]// 000000006A10: D3F3000C 1C330DAE
	v_fma_f32 v188, v8, v6, v188                               // 000000006A18: D1CB00BC 06F20D08
	v_fma_f32 v189, v9, v6, v189                               // 000000006A20: D1CB00BD 06F60D09
	v_fma_f32 v190, v10, v6, v190                              // 000000006A28: D1CB00BE 06FA0D0A
	v_fma_f32 v191, v11, v6, v191                              // 000000006A30: D1CB00BF 06FE0D0B
	v_mul_f32_dpp v4, v27, v47 row_newbcast:0 row_mask:0xf bank_mask:0xf// 000000006A38: 0A085EFA FF01501B
	v_mfma_f32_16x16x32_fp8_fp8 v[8:11], a[160:161], a[136:137], 0// 000000006A40: D3F30008 1A0311A0
	s_add_u32 s60, 0x180, s80                                  // 000000006A48: 803C50FF 00000180
	s_cmp_lt_u32 s60, s81                                      // 000000006A50: BF0A513C
	s_cselect_b32 s57, s57, 0                                  // 000000006A54: 85398039
	s_cselect_b32 s3, s3, 0                                    // 000000006A58: 85038003
	v_mfma_f32_16x16x32_fp8_fp8 v[8:11], a[162:163], a[138:139], v[8:11]// 000000006A5C: D3F30008 1C2315A2
	s_add_u32 s60, 0x100, s80                                  // 000000006A64: 803C50FF 00000100
	s_cmp_lt_u32 s60, s81                                      // 000000006A6C: BF0A513C
	s_cselect_b32 s58, s58, 0                                  // 000000006A70: 853A803A
	v_mfma_f32_16x16x32_fp8_fp8 v[8:11], a[164:165], a[140:141], v[8:11]// 000000006A74: D3F30008 1C2319A4
	s_add_u32 s60, 0x100, s80                                  // 000000006A7C: 803C50FF 00000100
	s_cmp_lt_u32 s60, s81                                      // 000000006A84: BF0A513C
	s_cselect_b32 s83, s83, 0                                  // 000000006A88: 85538053
	s_cselect_b32 s4, s4, 0                                    // 000000006A8C: 85048004
	v_mfma_f32_16x16x32_fp8_fp8 v[8:11], a[166:167], a[142:143], v[8:11]// 000000006A90: D3F30008 1C231DA6
	s_add_u32 s24, s58, s24                                    // 000000006A98: 8018183A
	s_addc_u32 s25, 0, s25                                     // 000000006A9C: 82191980
	v_fma_f32 v224, v12, v6, v224                              // 000000006AA0: D1CB00E0 07820D0C
	v_fma_f32 v225, v13, v6, v225                              // 000000006AA8: D1CB00E1 07860D0D
	v_fma_f32 v226, v14, v6, v226                              // 000000006AB0: D1CB00E2 078A0D0E
	v_fma_f32 v227, v15, v6, v227                              // 000000006AB8: D1CB00E3 078E0D0F
	v_mfma_f32_16x16x32_fp8_fp8 v[12:15], a[168:169], a[136:137], 0// 000000006AC0: D3F3000C 1A0311A8
	s_add_u32 s20, s57, s20                                    // 000000006AC8: 80141439
	s_addc_u32 s21, 0, s21                                     // 000000006ACC: 82151580
	s_add_u32 s28, s3, s28                                     // 000000006AD0: 801C1C03
	s_addc_u32 s29, 0, s29                                     // 000000006AD4: 821D1D80
	v_mfma_f32_16x16x32_fp8_fp8 v[12:15], a[170:171], a[138:139], v[12:15]// 000000006AD8: D3F3000C 1C3315AA
	s_add_u32 s84, s83, s84                                    // 000000006AE0: 80545453
	s_addc_u32 s85, 0, s85                                     // 000000006AE4: 82555580
	v_mfma_f32_16x16x32_fp8_fp8 v[12:15], a[172:173], a[140:141], v[12:15]// 000000006AE8: D3F3000C 1C3319AC
	s_add_u32 s32, s4, s32                                     // 000000006AF0: 80202004
	s_addc_u32 s33, 0, s33                                     // 000000006AF4: 82212180
	v_mfma_f32_16x16x32_fp8_fp8 v[12:15], a[174:175], a[142:143], v[12:15]// 000000006AF8: D3F3000C 1C331DAE
	v_fma_f32 v192, v8, v4, v192                               // 000000006B00: D1CB00C0 07020908
	v_fma_f32 v193, v9, v4, v193                               // 000000006B08: D1CB00C1 07060909
	v_fma_f32 v194, v10, v4, v194                              // 000000006B10: D1CB00C2 070A090A
	v_fma_f32 v195, v11, v4, v195                              // 000000006B18: D1CB00C3 070E090B
	v_fma_f32 v228, v12, v4, v228                              // 000000006B20: D1CB00E4 0792090C
	v_fma_f32 v229, v13, v4, v229                              // 000000006B28: D1CB00E5 0796090D
	v_fma_f32 v230, v14, v4, v230                              // 000000006B30: D1CB00E6 079A090E
	v_fma_f32 v231, v15, v4, v231                              // 000000006B38: D1CB00E7 079E090F
	s_addk_i32 s80, 0x80                                       // 000000006B40: B7500080
	s_cmp_lt_i32 s80, s81                                      // 000000006B44: BF045150
	s_cbranch_scc0 label_167A                                  // 000000006B48: BF840627
	s_waitcnt vmcnt(32) lgkmcnt(0)                             // 000000006B4C: BF8C8070
	v_mul_f32_dpp v4, v25, v48 row_newbcast:0 row_mask:0xf bank_mask:0xf// 000000006B50: 0A0860FA FF015019
	v_mfma_f32_16x16x32_fp8_fp8 v[8:11], a[176:177], a[0:1], 0 // 000000006B58: D3F30008 1A0201B0
	buffer_load_dword v26, v22, s[32:35], 0 offen              // 000000006B60: E0501000 80081A16
	v_mfma_f32_16x16x32_fp8_fp8 v[8:11], a[178:179], a[2:3], v[8:11]// 000000006B68: D3F30008 1C2205B2
	buffer_load_dwordx4 a[160:163], v84, s[24:27], 0 offen     // 000000006B70: E05C1000 8086A054
	v_mfma_f32_16x16x32_fp8_fp8 v[8:11], a[180:181], a[4:5], v[8:11]// 000000006B78: D3F30008 1C2209B4
	v_mfma_f32_16x16x32_fp8_fp8 v[8:11], a[182:183], a[6:7], v[8:11]// 000000006B80: D3F30008 1C220DB6
	v_mfma_f32_16x16x32_fp8_fp8 v[12:15], a[184:185], a[0:1], 0// 000000006B88: D3F3000C 1A0201B8
	v_mfma_f32_16x16x32_fp8_fp8 v[12:15], a[186:187], a[2:3], v[12:15]// 000000006B90: D3F3000C 1C3205BA
	buffer_load_dwordx4 a[164:167], v84, s[24:27], 0 offen offset:1024// 000000006B98: E05C1400 8086A454
	v_mfma_f32_16x16x32_fp8_fp8 v[12:15], a[188:189], a[4:5], v[12:15]// 000000006BA0: D3F3000C 1C3209BC
	v_mfma_f32_16x16x32_fp8_fp8 v[12:15], a[190:191], a[6:7], v[12:15]// 000000006BA8: D3F3000C 1C320DBE
	v_fma_f32 v88, v8, v4, v88                                 // 000000006BB0: D1CB0058 05620908
	v_fma_f32 v89, v9, v4, v89                                 // 000000006BB8: D1CB0059 05660909
	v_fma_f32 v90, v10, v4, v90                                // 000000006BC0: D1CB005A 056A090A
	v_fma_f32 v91, v11, v4, v91                                // 000000006BC8: D1CB005B 056E090B
	v_mul_f32_dpp v6, v25, v49 row_newbcast:0 row_mask:0xf bank_mask:0xf// 000000006BD0: 0A0C62FA FF015019
	v_mfma_f32_16x16x32_fp8_fp8 v[8:11], a[176:177], a[8:9], 0 // 000000006BD8: D3F30008 1A0211B0
	v_mfma_f32_16x16x32_fp8_fp8 v[8:11], a[178:179], a[10:11], v[8:11]// 000000006BE0: D3F30008 1C2215B2
	buffer_load_dwordx4 a[168:171], v85, s[24:27], 0 offen     // 000000006BE8: E05C1000 8086A855
	v_mfma_f32_16x16x32_fp8_fp8 v[8:11], a[180:181], a[12:13], v[8:11]// 000000006BF0: D3F30008 1C2219B4
	v_mfma_f32_16x16x32_fp8_fp8 v[8:11], a[182:183], a[14:15], v[8:11]// 000000006BF8: D3F30008 1C221DB6
	v_fma_f32 v124, v12, v4, v124                              // 000000006C00: D1CB007C 05F2090C
	v_fma_f32 v125, v13, v4, v125                              // 000000006C08: D1CB007D 05F6090D
	v_fma_f32 v126, v14, v4, v126                              // 000000006C10: D1CB007E 05FA090E
	v_fma_f32 v127, v15, v4, v127                              // 000000006C18: D1CB007F 05FE090F
	v_mfma_f32_16x16x32_fp8_fp8 v[12:15], a[184:185], a[8:9], 0// 000000006C20: D3F3000C 1A0211B8
	v_mfma_f32_16x16x32_fp8_fp8 v[12:15], a[186:187], a[10:11], v[12:15]// 000000006C28: D3F3000C 1C3215BA
	buffer_load_dwordx4 a[172:175], v85, s[24:27], 0 offen offset:1024// 000000006C30: E05C1400 8086AC55
	buffer_load_dword v66, s[20:23], 0 offen lds               // 000000006C38: E0511000 80050042
	s_add_u32 m0, 0x100, s48                                   // 000000006C40: 807C30FF 00000100
	v_mfma_f32_16x16x32_fp8_fp8 v[12:15], a[188:189], a[12:13], v[12:15]// 000000006C48: D3F3000C 1C3219BC
	v_mfma_f32_16x16x32_fp8_fp8 v[12:15], a[190:191], a[14:15], v[12:15]// 000000006C50: D3F3000C 1C321DBE
	buffer_load_dword v67, s[20:23], 0 offen lds               // 000000006C58: E0511000 80050043
	s_add_u32 m0, 0x200, s48                                   // 000000006C60: 807C30FF 00000200
	v_fma_f32 v92, v8, v6, v92                                 // 000000006C68: D1CB005C 05720D08
	v_fma_f32 v93, v9, v6, v93                                 // 000000006C70: D1CB005D 05760D09
	v_fma_f32 v94, v10, v6, v94                                // 000000006C78: D1CB005E 057A0D0A
	v_fma_f32 v95, v11, v6, v95                                // 000000006C80: D1CB005F 057E0D0B
	v_mul_f32_dpp v4, v25, v50 row_newbcast:0 row_mask:0xf bank_mask:0xf// 000000006C88: 0A0864FA FF015019
	v_mfma_f32_16x16x32_fp8_fp8 v[8:11], a[176:177], a[16:17], 0// 000000006C90: D3F30008 1A0221B0
	v_mfma_f32_16x16x32_fp8_fp8 v[8:11], a[178:179], a[18:19], v[8:11]// 000000006C98: D3F30008 1C2225B2
	buffer_load_dword v68, s[20:23], 0 offen lds               // 000000006CA0: E0511000 80050044
	s_add_u32 m0, 0x300, s48                                   // 000000006CA8: 807C30FF 00000300
	v_mfma_f32_16x16x32_fp8_fp8 v[8:11], a[180:181], a[20:21], v[8:11]// 000000006CB0: D3F30008 1C2229B4
	v_mfma_f32_16x16x32_fp8_fp8 v[8:11], a[182:183], a[22:23], v[8:11]// 000000006CB8: D3F30008 1C222DB6
	buffer_load_dword v69, s[20:23], 0 offen lds               // 000000006CC0: E0511000 80050045
	s_add_u32 m0, 0x400, s48                                   // 000000006CC8: 807C30FF 00000400
	v_fma_f32 v128, v12, v6, v128                              // 000000006CD0: D1CB0080 06020D0C
	v_fma_f32 v129, v13, v6, v129                              // 000000006CD8: D1CB0081 06060D0D
	v_fma_f32 v130, v14, v6, v130                              // 000000006CE0: D1CB0082 060A0D0E
	v_fma_f32 v131, v15, v6, v131                              // 000000006CE8: D1CB0083 060E0D0F
	v_mfma_f32_16x16x32_fp8_fp8 v[12:15], a[184:185], a[16:17], 0// 000000006CF0: D3F3000C 1A0221B8
	v_mfma_f32_16x16x32_fp8_fp8 v[12:15], a[186:187], a[18:19], v[12:15]// 000000006CF8: D3F3000C 1C3225BA
	buffer_load_dword v70, s[20:23], 0 offen lds               // 000000006D00: E0511000 80050046
	s_add_u32 m0, 0x500, s48                                   // 000000006D08: 807C30FF 00000500
	v_mfma_f32_16x16x32_fp8_fp8 v[12:15], a[188:189], a[20:21], v[12:15]// 000000006D10: D3F3000C 1C3229BC
	v_mfma_f32_16x16x32_fp8_fp8 v[12:15], a[190:191], a[22:23], v[12:15]// 000000006D18: D3F3000C 1C322DBE
	buffer_load_dword v71, s[20:23], 0 offen lds               // 000000006D20: E0511000 80050047
	s_add_u32 m0, 0x600, s48                                   // 000000006D28: 807C30FF 00000600
	v_fma_f32 v96, v8, v4, v96                                 // 000000006D30: D1CB0060 05820908
	v_fma_f32 v97, v9, v4, v97                                 // 000000006D38: D1CB0061 05860909
	v_fma_f32 v98, v10, v4, v98                                // 000000006D40: D1CB0062 058A090A
	v_fma_f32 v99, v11, v4, v99                                // 000000006D48: D1CB0063 058E090B
	v_mul_f32_dpp v6, v25, v51 row_newbcast:0 row_mask:0xf bank_mask:0xf// 000000006D50: 0A0C66FA FF015019
	v_mfma_f32_16x16x32_fp8_fp8 v[8:11], a[176:177], a[24:25], 0// 000000006D58: D3F30008 1A0231B0
	v_mfma_f32_16x16x32_fp8_fp8 v[8:11], a[178:179], a[26:27], v[8:11]// 000000006D60: D3F30008 1C2235B2
	buffer_load_dword v72, s[20:23], 0 offen lds               // 000000006D68: E0511000 80050048
	s_add_u32 m0, 0x700, s48                                   // 000000006D70: 807C30FF 00000700
	v_mfma_f32_16x16x32_fp8_fp8 v[8:11], a[180:181], a[28:29], v[8:11]// 000000006D78: D3F30008 1C2239B4
	v_mfma_f32_16x16x32_fp8_fp8 v[8:11], a[182:183], a[30:31], v[8:11]// 000000006D80: D3F30008 1C223DB6
	buffer_load_dword v73, s[20:23], 0 offen lds               // 000000006D88: E0511000 80050049
	s_add_u32 m0, 0x800, s48                                   // 000000006D90: 807C30FF 00000800
	v_fma_f32 v132, v12, v4, v132                              // 000000006D98: D1CB0084 0612090C
	v_fma_f32 v133, v13, v4, v133                              // 000000006DA0: D1CB0085 0616090D
	v_fma_f32 v134, v14, v4, v134                              // 000000006DA8: D1CB0086 061A090E
	v_fma_f32 v135, v15, v4, v135                              // 000000006DB0: D1CB0087 061E090F
	v_mfma_f32_16x16x32_fp8_fp8 v[12:15], a[184:185], a[24:25], 0// 000000006DB8: D3F3000C 1A0231B8
	v_mfma_f32_16x16x32_fp8_fp8 v[12:15], a[186:187], a[26:27], v[12:15]// 000000006DC0: D3F3000C 1C3235BA
	buffer_load_dword v74, s[20:23], 0 offen lds               // 000000006DC8: E0511000 8005004A
	s_add_u32 m0, 0x900, s48                                   // 000000006DD0: 807C30FF 00000900
	v_mfma_f32_16x16x32_fp8_fp8 v[12:15], a[188:189], a[28:29], v[12:15]// 000000006DD8: D3F3000C 1C3239BC
	v_mfma_f32_16x16x32_fp8_fp8 v[12:15], a[190:191], a[30:31], v[12:15]// 000000006DE0: D3F3000C 1C323DBE
	buffer_load_dword v75, s[20:23], 0 offen lds               // 000000006DE8: E0511000 8005004B
	s_add_u32 m0, 0xa00, s48                                   // 000000006DF0: 807C30FF 00000A00
	v_fma_f32 v100, v8, v6, v100                               // 000000006DF8: D1CB0064 05920D08
	v_fma_f32 v101, v9, v6, v101                               // 000000006E00: D1CB0065 05960D09
	v_fma_f32 v102, v10, v6, v102                              // 000000006E08: D1CB0066 059A0D0A
	v_fma_f32 v103, v11, v6, v103                              // 000000006E10: D1CB0067 059E0D0B
	v_mul_f32_dpp v4, v25, v52 row_newbcast:0 row_mask:0xf bank_mask:0xf// 000000006E18: 0A0868FA FF015019
	v_mfma_f32_16x16x32_fp8_fp8 v[8:11], a[176:177], a[32:33], 0// 000000006E20: D3F30008 1A0241B0
	v_mfma_f32_16x16x32_fp8_fp8 v[8:11], a[178:179], a[34:35], v[8:11]// 000000006E28: D3F30008 1C2245B2
	buffer_load_dword v76, s[20:23], 0 offen lds               // 000000006E30: E0511000 8005004C
	s_add_u32 m0, 0xb00, s48                                   // 000000006E38: 807C30FF 00000B00
	v_mfma_f32_16x16x32_fp8_fp8 v[8:11], a[180:181], a[36:37], v[8:11]// 000000006E40: D3F30008 1C2249B4
	v_mfma_f32_16x16x32_fp8_fp8 v[8:11], a[182:183], a[38:39], v[8:11]// 000000006E48: D3F30008 1C224DB6
	buffer_load_dword v77, s[20:23], 0 offen lds               // 000000006E50: E0511000 8005004D
	s_add_u32 m0, 0xc00, s48                                   // 000000006E58: 807C30FF 00000C00
	v_fma_f32 v136, v12, v6, v136                              // 000000006E60: D1CB0088 06220D0C
	v_fma_f32 v137, v13, v6, v137                              // 000000006E68: D1CB0089 06260D0D
	v_fma_f32 v138, v14, v6, v138                              // 000000006E70: D1CB008A 062A0D0E
	v_fma_f32 v139, v15, v6, v139                              // 000000006E78: D1CB008B 062E0D0F
	v_mfma_f32_16x16x32_fp8_fp8 v[12:15], a[184:185], a[32:33], 0// 000000006E80: D3F3000C 1A0241B8
	v_mfma_f32_16x16x32_fp8_fp8 v[12:15], a[186:187], a[34:35], v[12:15]// 000000006E88: D3F3000C 1C3245BA
	buffer_load_dword v78, s[20:23], 0 offen lds               // 000000006E90: E0511000 8005004E
	s_add_u32 m0, 0xd00, s48                                   // 000000006E98: 807C30FF 00000D00
	v_mfma_f32_16x16x32_fp8_fp8 v[12:15], a[188:189], a[36:37], v[12:15]// 000000006EA0: D3F3000C 1C3249BC
	v_mfma_f32_16x16x32_fp8_fp8 v[12:15], a[190:191], a[38:39], v[12:15]// 000000006EA8: D3F3000C 1C324DBE
	buffer_load_dword v79, s[20:23], 0 offen lds               // 000000006EB0: E0511000 8005004F
	s_add_u32 m0, 0xe00, s48                                   // 000000006EB8: 807C30FF 00000E00
	v_fma_f32 v104, v8, v4, v104                               // 000000006EC0: D1CB0068 05A20908
	v_fma_f32 v105, v9, v4, v105                               // 000000006EC8: D1CB0069 05A60909
	v_fma_f32 v106, v10, v4, v106                              // 000000006ED0: D1CB006A 05AA090A
	v_fma_f32 v107, v11, v4, v107                              // 000000006ED8: D1CB006B 05AE090B
	v_mul_f32_dpp v6, v25, v53 row_newbcast:0 row_mask:0xf bank_mask:0xf// 000000006EE0: 0A0C6AFA FF015019
	v_mfma_f32_16x16x32_fp8_fp8 v[8:11], a[176:177], a[40:41], 0// 000000006EE8: D3F30008 1A0251B0
	v_mfma_f32_16x16x32_fp8_fp8 v[8:11], a[178:179], a[42:43], v[8:11]// 000000006EF0: D3F30008 1C2255B2
	buffer_load_dword v80, s[20:23], 0 offen lds               // 000000006EF8: E0511000 80050050
	s_add_u32 m0, 0xf00, s48                                   // 000000006F00: 807C30FF 00000F00
	v_mfma_f32_16x16x32_fp8_fp8 v[8:11], a[180:181], a[44:45], v[8:11]// 000000006F08: D3F30008 1C2259B4
	v_mfma_f32_16x16x32_fp8_fp8 v[8:11], a[182:183], a[46:47], v[8:11]// 000000006F10: D3F30008 1C225DB6
	buffer_load_dword v81, s[20:23], 0 offen lds               // 000000006F18: E0511000 80050051
	s_add_u32 m0, 0x1000, s48                                  // 000000006F20: 807C30FF 00001000
	v_fma_f32 v140, v12, v4, v140                              // 000000006F28: D1CB008C 0632090C
	v_fma_f32 v141, v13, v4, v141                              // 000000006F30: D1CB008D 0636090D
	v_fma_f32 v142, v14, v4, v142                              // 000000006F38: D1CB008E 063A090E
	v_fma_f32 v143, v15, v4, v143                              // 000000006F40: D1CB008F 063E090F
	v_mfma_f32_16x16x32_fp8_fp8 v[12:15], a[184:185], a[40:41], 0// 000000006F48: D3F3000C 1A0251B8
	v_mfma_f32_16x16x32_fp8_fp8 v[12:15], a[186:187], a[42:43], v[12:15]// 000000006F50: D3F3000C 1C3255BA
	buffer_load_dword v82, s[20:23], 0 offen lds               // 000000006F58: E0511000 80050052
	s_add_u32 m0, 0x1100, s48                                  // 000000006F60: 807C30FF 00001100
	v_mfma_f32_16x16x32_fp8_fp8 v[12:15], a[188:189], a[44:45], v[12:15]// 000000006F68: D3F3000C 1C3259BC
	v_mfma_f32_16x16x32_fp8_fp8 v[12:15], a[190:191], a[46:47], v[12:15]// 000000006F70: D3F3000C 1C325DBE
	buffer_load_dword v83, s[20:23], 0 offen lds               // 000000006F78: E0511000 80050053
	s_add_u32 m0, 0, s49                                       // 000000006F80: 807C3180
	v_fma_f32 v108, v8, v6, v108                               // 000000006F84: D1CB006C 05B20D08
	v_fma_f32 v109, v9, v6, v109                               // 000000006F8C: D1CB006D 05B60D09
	v_fma_f32 v110, v10, v6, v110                              // 000000006F94: D1CB006E 05BA0D0A
	v_fma_f32 v111, v11, v6, v111                              // 000000006F9C: D1CB006F 05BE0D0B
	v_mul_f32_dpp v4, v25, v54 row_newbcast:0 row_mask:0xf bank_mask:0xf// 000000006FA4: 0A086CFA FF015019
	v_mfma_f32_16x16x32_fp8_fp8 v[8:11], a[176:177], a[48:49], 0// 000000006FAC: D3F30008 1A0261B0
	v_mfma_f32_16x16x32_fp8_fp8 v[8:11], a[178:179], a[50:51], v[8:11]// 000000006FB4: D3F30008 1C2265B2
	buffer_load_dword v39, v30, s[28:31], 0 offen              // 000000006FBC: E0501000 8007271E
	v_mfma_f32_16x16x32_fp8_fp8 v[8:11], a[180:181], a[52:53], v[8:11]// 000000006FC4: D3F30008 1C2269B4
	v_mfma_f32_16x16x32_fp8_fp8 v[8:11], a[182:183], a[54:55], v[8:11]// 000000006FCC: D3F30008 1C226DB6
	buffer_load_dword v40, v31, s[28:31], 0 offen              // 000000006FD4: E0501000 8007281F
	v_fma_f32 v144, v12, v6, v144                              // 000000006FDC: D1CB0090 06420D0C
	v_fma_f32 v145, v13, v6, v145                              // 000000006FE4: D1CB0091 06460D0D
	v_fma_f32 v146, v14, v6, v146                              // 000000006FEC: D1CB0092 064A0D0E
	v_fma_f32 v147, v15, v6, v147                              // 000000006FF4: D1CB0093 064E0D0F
	v_mfma_f32_16x16x32_fp8_fp8 v[12:15], a[184:185], a[48:49], 0// 000000006FFC: D3F3000C 1A0261B8
	v_mfma_f32_16x16x32_fp8_fp8 v[12:15], a[186:187], a[50:51], v[12:15]// 000000007004: D3F3000C 1C3265BA
	buffer_load_dword v41, v32, s[28:31], 0 offen              // 00000000700C: E0501000 80072920
	v_mfma_f32_16x16x32_fp8_fp8 v[12:15], a[188:189], a[52:53], v[12:15]// 000000007014: D3F3000C 1C3269BC
	v_mfma_f32_16x16x32_fp8_fp8 v[12:15], a[190:191], a[54:55], v[12:15]// 00000000701C: D3F3000C 1C326DBE
	buffer_load_dword v42, v33, s[28:31], 0 offen              // 000000007024: E0501000 80072A21
	v_fma_f32 v112, v8, v4, v112                               // 00000000702C: D1CB0070 05C20908
	v_fma_f32 v113, v9, v4, v113                               // 000000007034: D1CB0071 05C60909
	v_fma_f32 v114, v10, v4, v114                              // 00000000703C: D1CB0072 05CA090A
	v_fma_f32 v115, v11, v4, v115                              // 000000007044: D1CB0073 05CE090B
	v_mul_f32_dpp v6, v25, v55 row_newbcast:0 row_mask:0xf bank_mask:0xf// 00000000704C: 0A0C6EFA FF015019
	v_mfma_f32_16x16x32_fp8_fp8 v[8:11], a[176:177], a[56:57], 0// 000000007054: D3F30008 1A0271B0
	v_mfma_f32_16x16x32_fp8_fp8 v[8:11], a[178:179], a[58:59], v[8:11]// 00000000705C: D3F30008 1C2275B2
	buffer_load_dword v43, v34, s[28:31], 0 offen              // 000000007064: E0501000 80072B22
	v_mfma_f32_16x16x32_fp8_fp8 v[8:11], a[180:181], a[60:61], v[8:11]// 00000000706C: D3F30008 1C2279B4
	v_mfma_f32_16x16x32_fp8_fp8 v[8:11], a[182:183], a[62:63], v[8:11]// 000000007074: D3F30008 1C227DB6
	buffer_load_dword v44, v35, s[28:31], 0 offen              // 00000000707C: E0501000 80072C23
	v_fma_f32 v148, v12, v4, v148                              // 000000007084: D1CB0094 0652090C
	v_fma_f32 v149, v13, v4, v149                              // 00000000708C: D1CB0095 0656090D
	v_fma_f32 v150, v14, v4, v150                              // 000000007094: D1CB0096 065A090E
	v_fma_f32 v151, v15, v4, v151                              // 00000000709C: D1CB0097 065E090F
	v_mfma_f32_16x16x32_fp8_fp8 v[12:15], a[184:185], a[56:57], 0// 0000000070A4: D3F3000C 1A0271B8
	v_mfma_f32_16x16x32_fp8_fp8 v[12:15], a[186:187], a[58:59], v[12:15]// 0000000070AC: D3F3000C 1C3275BA
	buffer_load_dword v45, v36, s[28:31], 0 offen              // 0000000070B4: E0501000 80072D24
	v_mfma_f32_16x16x32_fp8_fp8 v[12:15], a[188:189], a[60:61], v[12:15]// 0000000070BC: D3F3000C 1C3279BC
	v_mfma_f32_16x16x32_fp8_fp8 v[12:15], a[190:191], a[62:63], v[12:15]// 0000000070C4: D3F3000C 1C327DBE
	buffer_load_dword v46, v37, s[28:31], 0 offen              // 0000000070CC: E0501000 80072E25
	v_fma_f32 v116, v8, v6, v116                               // 0000000070D4: D1CB0074 05D20D08
	v_fma_f32 v117, v9, v6, v117                               // 0000000070DC: D1CB0075 05D60D09
	v_fma_f32 v118, v10, v6, v118                              // 0000000070E4: D1CB0076 05DA0D0A
	v_fma_f32 v119, v11, v6, v119                              // 0000000070EC: D1CB0077 05DE0D0B
	v_mul_f32_dpp v4, v25, v56 row_newbcast:0 row_mask:0xf bank_mask:0xf// 0000000070F4: 0A0870FA FF015019
	v_mfma_f32_16x16x32_fp8_fp8 v[8:11], a[176:177], a[64:65], 0// 0000000070FC: D3F30008 1A0281B0
	v_mfma_f32_16x16x32_fp8_fp8 v[8:11], a[178:179], a[66:67], v[8:11]// 000000007104: D3F30008 1C2285B2
	buffer_load_dword v47, v38, s[28:31], 0 offen              // 00000000710C: E0501000 80072F26
	v_mfma_f32_16x16x32_fp8_fp8 v[8:11], a[180:181], a[68:69], v[8:11]// 000000007114: D3F30008 1C2289B4
	v_mfma_f32_16x16x32_fp8_fp8 v[8:11], a[182:183], a[70:71], v[8:11]// 00000000711C: D3F30008 1C228DB6
	v_fma_f32 v152, v12, v6, v152                              // 000000007124: D1CB0098 06620D0C
	v_fma_f32 v153, v13, v6, v153                              // 00000000712C: D1CB0099 06660D0D
	v_fma_f32 v154, v14, v6, v154                              // 000000007134: D1CB009A 066A0D0E
	v_fma_f32 v155, v15, v6, v155                              // 00000000713C: D1CB009B 066E0D0F
	v_mfma_f32_16x16x32_fp8_fp8 v[12:15], a[184:185], a[64:65], 0// 000000007144: D3F3000C 1A0281B8
	v_mfma_f32_16x16x32_fp8_fp8 v[12:15], a[186:187], a[66:67], v[12:15]// 00000000714C: D3F3000C 1C3285BA
	v_mfma_f32_16x16x32_fp8_fp8 v[12:15], a[188:189], a[68:69], v[12:15]// 000000007154: D3F3000C 1C3289BC
	v_mfma_f32_16x16x32_fp8_fp8 v[12:15], a[190:191], a[70:71], v[12:15]// 00000000715C: D3F3000C 1C328DBE
	v_fma_f32 v120, v8, v4, v120                               // 000000007164: D1CB0078 05E20908
	v_fma_f32 v121, v9, v4, v121                               // 00000000716C: D1CB0079 05E60909
	v_fma_f32 v122, v10, v4, v122                              // 000000007174: D1CB007A 05EA090A
	v_fma_f32 v123, v11, v4, v123                              // 00000000717C: D1CB007B 05EE090B
	v_fma_f32 v156, v12, v4, v156                              // 000000007184: D1CB009C 0672090C
	v_fma_f32 v157, v13, v4, v157                              // 00000000718C: D1CB009D 0676090D
	v_fma_f32 v158, v14, v4, v158                              // 000000007194: D1CB009E 067A090E
	v_fma_f32 v159, v15, v4, v159                              // 00000000719C: D1CB009F 067E090F
	s_waitcnt vmcnt(32)                                        // 0000000071A4: BF8C8F70
	s_barrier                                                  // 0000000071A8: BF8A0000
	v_mul_f32_dpp v4, v28, v48 row_newbcast:0 row_mask:0xf bank_mask:0xf// 0000000071AC: 0A0860FA FF01501C
	v_mfma_f32_16x16x32_fp8_fp8 v[8:11], a[144:145], a[0:1], 0 // 0000000071B4: D3F30008 1A020190
	buffer_load_dword v29, v23, s[32:35], 0 offen              // 0000000071BC: E0501000 80081D17
	v_mfma_f32_16x16x32_fp8_fp8 v[8:11], a[146:147], a[2:3], v[8:11]// 0000000071C4: D3F30008 1C220592
	buffer_load_dwordx4 a[176:179], v84, s[84:87], 0 offen     // 0000000071CC: E05C1000 8095B054
	v_mfma_f32_16x16x32_fp8_fp8 v[8:11], a[148:149], a[4:5], v[8:11]// 0000000071D4: D3F30008 1C220994
	v_mfma_f32_16x16x32_fp8_fp8 v[8:11], a[150:151], a[6:7], v[8:11]// 0000000071DC: D3F30008 1C220D96
	ds_read_b128 a[72:75], v2 offset:37120                     // 0000000071E4: DBFE9100 48000002
	ds_read_b128 a[76:79], v2 offset:37184                     // 0000000071EC: DBFE9140 4C000002
	v_mfma_f32_16x16x32_fp8_fp8 v[12:15], a[152:153], a[0:1], 0// 0000000071F4: D3F3000C 1A020198
	v_mfma_f32_16x16x32_fp8_fp8 v[12:15], a[154:155], a[2:3], v[12:15]// 0000000071FC: D3F3000C 1C32059A
	buffer_load_dwordx4 a[180:183], v84, s[84:87], 0 offen offset:1024// 000000007204: E05C1400 8095B454
	v_mfma_f32_16x16x32_fp8_fp8 v[12:15], a[156:157], a[4:5], v[12:15]// 00000000720C: D3F3000C 1C32099C
	v_mfma_f32_16x16x32_fp8_fp8 v[12:15], a[158:159], a[6:7], v[12:15]// 000000007214: D3F3000C 1C320D9E
	ds_read_b128 a[80:83], v2 offset:37632                     // 00000000721C: DBFE9300 50000002
	ds_read_b128 a[84:87], v2 offset:37696                     // 000000007224: DBFE9340 54000002
	v_fma_f32 v160, v8, v4, v160                               // 00000000722C: D1CB00A0 06820908
	v_fma_f32 v161, v9, v4, v161                               // 000000007234: D1CB00A1 06860909
	v_fma_f32 v162, v10, v4, v162                              // 00000000723C: D1CB00A2 068A090A
	v_fma_f32 v163, v11, v4, v163                              // 000000007244: D1CB00A3 068E090B
	v_mul_f32_dpp v6, v28, v49 row_newbcast:0 row_mask:0xf bank_mask:0xf// 00000000724C: 0A0C62FA FF01501C
	v_mfma_f32_16x16x32_fp8_fp8 v[8:11], a[144:145], a[8:9], 0 // 000000007254: D3F30008 1A021190
	v_mfma_f32_16x16x32_fp8_fp8 v[8:11], a[146:147], a[10:11], v[8:11]// 00000000725C: D3F30008 1C221592
	buffer_load_dwordx4 a[184:187], v85, s[84:87], 0 offen     // 000000007264: E05C1000 8095B855
	v_mfma_f32_16x16x32_fp8_fp8 v[8:11], a[148:149], a[12:13], v[8:11]// 00000000726C: D3F30008 1C221994
	v_mfma_f32_16x16x32_fp8_fp8 v[8:11], a[150:151], a[14:15], v[8:11]// 000000007274: D3F30008 1C221D96
	ds_read_b128 a[88:91], v2 offset:38144                     // 00000000727C: DBFE9500 58000002
	ds_read_b128 a[92:95], v2 offset:38208                     // 000000007284: DBFE9540 5C000002
	v_fma_f32 v196, v12, v4, v196                              // 00000000728C: D1CB00C4 0712090C
	v_fma_f32 v197, v13, v4, v197                              // 000000007294: D1CB00C5 0716090D
	v_fma_f32 v198, v14, v4, v198                              // 00000000729C: D1CB00C6 071A090E
	v_fma_f32 v199, v15, v4, v199                              // 0000000072A4: D1CB00C7 071E090F
	v_mfma_f32_16x16x32_fp8_fp8 v[12:15], a[152:153], a[8:9], 0// 0000000072AC: D3F3000C 1A021198
	v_mfma_f32_16x16x32_fp8_fp8 v[12:15], a[154:155], a[10:11], v[12:15]// 0000000072B4: D3F3000C 1C32159A
	buffer_load_dwordx4 a[188:191], v85, s[84:87], 0 offen offset:1024// 0000000072BC: E05C1400 8095BC55
	v_mfma_f32_16x16x32_fp8_fp8 v[12:15], a[156:157], a[12:13], v[12:15]// 0000000072C4: D3F3000C 1C32199C
	v_mfma_f32_16x16x32_fp8_fp8 v[12:15], a[158:159], a[14:15], v[12:15]// 0000000072CC: D3F3000C 1C321D9E
	ds_read_b128 a[96:99], v2 offset:38656                     // 0000000072D4: DBFE9700 60000002
	ds_read_b128 a[100:103], v2 offset:38720                   // 0000000072DC: DBFE9740 64000002
	v_fma_f32 v164, v8, v6, v164                               // 0000000072E4: D1CB00A4 06920D08
	v_fma_f32 v165, v9, v6, v165                               // 0000000072EC: D1CB00A5 06960D09
	v_fma_f32 v166, v10, v6, v166                              // 0000000072F4: D1CB00A6 069A0D0A
	v_fma_f32 v167, v11, v6, v167                              // 0000000072FC: D1CB00A7 069E0D0B
	v_mul_f32_dpp v4, v28, v50 row_newbcast:0 row_mask:0xf bank_mask:0xf// 000000007304: 0A0864FA FF01501C
	v_mfma_f32_16x16x32_fp8_fp8 v[8:11], a[144:145], a[16:17], 0// 00000000730C: D3F30008 1A022190
	v_mfma_f32_16x16x32_fp8_fp8 v[8:11], a[146:147], a[18:19], v[8:11]// 000000007314: D3F30008 1C222592
	v_mfma_f32_16x16x32_fp8_fp8 v[8:11], a[148:149], a[20:21], v[8:11]// 00000000731C: D3F30008 1C222994
	v_mfma_f32_16x16x32_fp8_fp8 v[8:11], a[150:151], a[22:23], v[8:11]// 000000007324: D3F30008 1C222D96
	ds_read_b128 a[104:107], v2 offset:39168                   // 00000000732C: DBFE9900 68000002
	ds_read_b128 a[108:111], v2 offset:39232                   // 000000007334: DBFE9940 6C000002
	v_fma_f32 v200, v12, v6, v200                              // 00000000733C: D1CB00C8 07220D0C
	v_fma_f32 v201, v13, v6, v201                              // 000000007344: D1CB00C9 07260D0D
	v_fma_f32 v202, v14, v6, v202                              // 00000000734C: D1CB00CA 072A0D0E
	v_fma_f32 v203, v15, v6, v203                              // 000000007354: D1CB00CB 072E0D0F
	v_mfma_f32_16x16x32_fp8_fp8 v[12:15], a[152:153], a[16:17], 0// 00000000735C: D3F3000C 1A022198
	v_mfma_f32_16x16x32_fp8_fp8 v[12:15], a[154:155], a[18:19], v[12:15]// 000000007364: D3F3000C 1C32259A
	v_mfma_f32_16x16x32_fp8_fp8 v[12:15], a[156:157], a[20:21], v[12:15]// 00000000736C: D3F3000C 1C32299C
	v_mfma_f32_16x16x32_fp8_fp8 v[12:15], a[158:159], a[22:23], v[12:15]// 000000007374: D3F3000C 1C322D9E
	ds_read_b128 a[112:115], v2 offset:39680                   // 00000000737C: DBFE9B00 70000002
	ds_read_b128 a[116:119], v2 offset:39744                   // 000000007384: DBFE9B40 74000002
	v_fma_f32 v168, v8, v4, v168                               // 00000000738C: D1CB00A8 06A20908
	v_fma_f32 v169, v9, v4, v169                               // 000000007394: D1CB00A9 06A60909
	v_fma_f32 v170, v10, v4, v170                              // 00000000739C: D1CB00AA 06AA090A
	v_fma_f32 v171, v11, v4, v171                              // 0000000073A4: D1CB00AB 06AE090B
	v_mul_f32_dpp v6, v28, v51 row_newbcast:0 row_mask:0xf bank_mask:0xf// 0000000073AC: 0A0C66FA FF01501C
	v_mfma_f32_16x16x32_fp8_fp8 v[8:11], a[144:145], a[24:25], 0// 0000000073B4: D3F30008 1A023190
	v_mfma_f32_16x16x32_fp8_fp8 v[8:11], a[146:147], a[26:27], v[8:11]// 0000000073BC: D3F30008 1C223592
	v_mfma_f32_16x16x32_fp8_fp8 v[8:11], a[148:149], a[28:29], v[8:11]// 0000000073C4: D3F30008 1C223994
	v_mfma_f32_16x16x32_fp8_fp8 v[8:11], a[150:151], a[30:31], v[8:11]// 0000000073CC: D3F30008 1C223D96
	ds_read_b128 a[120:123], v2 offset:40192                   // 0000000073D4: DBFE9D00 78000002
	ds_read_b128 a[124:127], v2 offset:40256                   // 0000000073DC: DBFE9D40 7C000002
	v_fma_f32 v204, v12, v4, v204                              // 0000000073E4: D1CB00CC 0732090C
	v_fma_f32 v205, v13, v4, v205                              // 0000000073EC: D1CB00CD 0736090D
	v_fma_f32 v206, v14, v4, v206                              // 0000000073F4: D1CB00CE 073A090E
	v_fma_f32 v207, v15, v4, v207                              // 0000000073FC: D1CB00CF 073E090F
	v_mfma_f32_16x16x32_fp8_fp8 v[12:15], a[152:153], a[24:25], 0// 000000007404: D3F3000C 1A023198
	v_mfma_f32_16x16x32_fp8_fp8 v[12:15], a[154:155], a[26:27], v[12:15]// 00000000740C: D3F3000C 1C32359A
	v_mfma_f32_16x16x32_fp8_fp8 v[12:15], a[156:157], a[28:29], v[12:15]// 000000007414: D3F3000C 1C32399C
	v_mfma_f32_16x16x32_fp8_fp8 v[12:15], a[158:159], a[30:31], v[12:15]// 00000000741C: D3F3000C 1C323D9E
	ds_read_b128 a[128:131], v2 offset:40704                   // 000000007424: DBFE9F00 80000002
	ds_read_b128 a[132:135], v2 offset:40768                   // 00000000742C: DBFE9F40 84000002
	v_fma_f32 v172, v8, v6, v172                               // 000000007434: D1CB00AC 06B20D08
	v_fma_f32 v173, v9, v6, v173                               // 00000000743C: D1CB00AD 06B60D09
	v_fma_f32 v174, v10, v6, v174                              // 000000007444: D1CB00AE 06BA0D0A
	v_fma_f32 v175, v11, v6, v175                              // 00000000744C: D1CB00AF 06BE0D0B
	v_mul_f32_dpp v4, v28, v52 row_newbcast:0 row_mask:0xf bank_mask:0xf// 000000007454: 0A0868FA FF01501C
	v_mfma_f32_16x16x32_fp8_fp8 v[8:11], a[144:145], a[32:33], 0// 00000000745C: D3F30008 1A024190
	v_mfma_f32_16x16x32_fp8_fp8 v[8:11], a[146:147], a[34:35], v[8:11]// 000000007464: D3F30008 1C224592
	v_mfma_f32_16x16x32_fp8_fp8 v[8:11], a[148:149], a[36:37], v[8:11]// 00000000746C: D3F30008 1C224994
	v_mfma_f32_16x16x32_fp8_fp8 v[8:11], a[150:151], a[38:39], v[8:11]// 000000007474: D3F30008 1C224D96
	ds_read_b128 a[136:139], v2 offset:41216                   // 00000000747C: DBFEA100 88000002
	ds_read_b128 a[140:143], v2 offset:41280                   // 000000007484: DBFEA140 8C000002
	v_fma_f32 v208, v12, v6, v208                              // 00000000748C: D1CB00D0 07420D0C
	v_fma_f32 v209, v13, v6, v209                              // 000000007494: D1CB00D1 07460D0D
	v_fma_f32 v210, v14, v6, v210                              // 00000000749C: D1CB00D2 074A0D0E
	v_fma_f32 v211, v15, v6, v211                              // 0000000074A4: D1CB00D3 074E0D0F
	v_mfma_f32_16x16x32_fp8_fp8 v[12:15], a[152:153], a[32:33], 0// 0000000074AC: D3F3000C 1A024198
	v_mfma_f32_16x16x32_fp8_fp8 v[12:15], a[154:155], a[34:35], v[12:15]// 0000000074B4: D3F3000C 1C32459A
	v_mfma_f32_16x16x32_fp8_fp8 v[12:15], a[156:157], a[36:37], v[12:15]// 0000000074BC: D3F3000C 1C32499C
	v_mfma_f32_16x16x32_fp8_fp8 v[12:15], a[158:159], a[38:39], v[12:15]// 0000000074C4: D3F3000C 1C324D9E
	v_fma_f32 v176, v8, v4, v176                               // 0000000074CC: D1CB00B0 06C20908
	v_fma_f32 v177, v9, v4, v177                               // 0000000074D4: D1CB00B1 06C60909
	v_fma_f32 v178, v10, v4, v178                              // 0000000074DC: D1CB00B2 06CA090A
	v_fma_f32 v179, v11, v4, v179                              // 0000000074E4: D1CB00B3 06CE090B
	v_mul_f32_dpp v6, v28, v53 row_newbcast:0 row_mask:0xf bank_mask:0xf// 0000000074EC: 0A0C6AFA FF01501C
	v_mfma_f32_16x16x32_fp8_fp8 v[8:11], a[144:145], a[40:41], 0// 0000000074F4: D3F30008 1A025190
	v_mfma_f32_16x16x32_fp8_fp8 v[8:11], a[146:147], a[42:43], v[8:11]// 0000000074FC: D3F30008 1C225592
	v_mfma_f32_16x16x32_fp8_fp8 v[8:11], a[148:149], a[44:45], v[8:11]// 000000007504: D3F30008 1C225994
	v_mfma_f32_16x16x32_fp8_fp8 v[8:11], a[150:151], a[46:47], v[8:11]// 00000000750C: D3F30008 1C225D96
	v_fma_f32 v212, v12, v4, v212                              // 000000007514: D1CB00D4 0752090C
	v_fma_f32 v213, v13, v4, v213                              // 00000000751C: D1CB00D5 0756090D
	v_fma_f32 v214, v14, v4, v214                              // 000000007524: D1CB00D6 075A090E
	v_fma_f32 v215, v15, v4, v215                              // 00000000752C: D1CB00D7 075E090F
	v_mfma_f32_16x16x32_fp8_fp8 v[12:15], a[152:153], a[40:41], 0// 000000007534: D3F3000C 1A025198
	v_mfma_f32_16x16x32_fp8_fp8 v[12:15], a[154:155], a[42:43], v[12:15]// 00000000753C: D3F3000C 1C32559A
	v_mfma_f32_16x16x32_fp8_fp8 v[12:15], a[156:157], a[44:45], v[12:15]// 000000007544: D3F3000C 1C32599C
	v_mfma_f32_16x16x32_fp8_fp8 v[12:15], a[158:159], a[46:47], v[12:15]// 00000000754C: D3F3000C 1C325D9E
	v_fma_f32 v180, v8, v6, v180                               // 000000007554: D1CB00B4 06D20D08
	v_fma_f32 v181, v9, v6, v181                               // 00000000755C: D1CB00B5 06D60D09
	v_fma_f32 v182, v10, v6, v182                              // 000000007564: D1CB00B6 06DA0D0A
	v_fma_f32 v183, v11, v6, v183                              // 00000000756C: D1CB00B7 06DE0D0B
	v_mul_f32_dpp v4, v28, v54 row_newbcast:0 row_mask:0xf bank_mask:0xf// 000000007574: 0A086CFA FF01501C
	v_mfma_f32_16x16x32_fp8_fp8 v[8:11], a[144:145], a[48:49], 0// 00000000757C: D3F30008 1A026190
	v_mfma_f32_16x16x32_fp8_fp8 v[8:11], a[146:147], a[50:51], v[8:11]// 000000007584: D3F30008 1C226592
	v_mfma_f32_16x16x32_fp8_fp8 v[8:11], a[148:149], a[52:53], v[8:11]// 00000000758C: D3F30008 1C226994
	v_mfma_f32_16x16x32_fp8_fp8 v[8:11], a[150:151], a[54:55], v[8:11]// 000000007594: D3F30008 1C226D96
	v_fma_f32 v216, v12, v6, v216                              // 00000000759C: D1CB00D8 07620D0C
	v_fma_f32 v217, v13, v6, v217                              // 0000000075A4: D1CB00D9 07660D0D
	v_fma_f32 v218, v14, v6, v218                              // 0000000075AC: D1CB00DA 076A0D0E
	v_fma_f32 v219, v15, v6, v219                              // 0000000075B4: D1CB00DB 076E0D0F
	v_mfma_f32_16x16x32_fp8_fp8 v[12:15], a[152:153], a[48:49], 0// 0000000075BC: D3F3000C 1A026198
	v_mfma_f32_16x16x32_fp8_fp8 v[12:15], a[154:155], a[50:51], v[12:15]// 0000000075C4: D3F3000C 1C32659A
	v_mfma_f32_16x16x32_fp8_fp8 v[12:15], a[156:157], a[52:53], v[12:15]// 0000000075CC: D3F3000C 1C32699C
	v_mfma_f32_16x16x32_fp8_fp8 v[12:15], a[158:159], a[54:55], v[12:15]// 0000000075D4: D3F3000C 1C326D9E
	v_fma_f32 v184, v8, v4, v184                               // 0000000075DC: D1CB00B8 06E20908
	v_fma_f32 v185, v9, v4, v185                               // 0000000075E4: D1CB00B9 06E60909
	v_fma_f32 v186, v10, v4, v186                              // 0000000075EC: D1CB00BA 06EA090A
	v_fma_f32 v187, v11, v4, v187                              // 0000000075F4: D1CB00BB 06EE090B
	v_mul_f32_dpp v6, v28, v55 row_newbcast:0 row_mask:0xf bank_mask:0xf// 0000000075FC: 0A0C6EFA FF01501C
	v_mfma_f32_16x16x32_fp8_fp8 v[8:11], a[144:145], a[56:57], 0// 000000007604: D3F30008 1A027190
	v_mfma_f32_16x16x32_fp8_fp8 v[8:11], a[146:147], a[58:59], v[8:11]// 00000000760C: D3F30008 1C227592
	v_mfma_f32_16x16x32_fp8_fp8 v[8:11], a[148:149], a[60:61], v[8:11]// 000000007614: D3F30008 1C227994
	v_mfma_f32_16x16x32_fp8_fp8 v[8:11], a[150:151], a[62:63], v[8:11]// 00000000761C: D3F30008 1C227D96
	v_fma_f32 v220, v12, v4, v220                              // 000000007624: D1CB00DC 0772090C
	v_fma_f32 v221, v13, v4, v221                              // 00000000762C: D1CB00DD 0776090D
	v_fma_f32 v222, v14, v4, v222                              // 000000007634: D1CB00DE 077A090E
	v_fma_f32 v223, v15, v4, v223                              // 00000000763C: D1CB00DF 077E090F
	v_mfma_f32_16x16x32_fp8_fp8 v[12:15], a[152:153], a[56:57], 0// 000000007644: D3F3000C 1A027198
	v_mfma_f32_16x16x32_fp8_fp8 v[12:15], a[154:155], a[58:59], v[12:15]// 00000000764C: D3F3000C 1C32759A
	v_mfma_f32_16x16x32_fp8_fp8 v[12:15], a[156:157], a[60:61], v[12:15]// 000000007654: D3F3000C 1C32799C
	v_mfma_f32_16x16x32_fp8_fp8 v[12:15], a[158:159], a[62:63], v[12:15]// 00000000765C: D3F3000C 1C327D9E
	v_fma_f32 v188, v8, v6, v188                               // 000000007664: D1CB00BC 06F20D08
	v_fma_f32 v189, v9, v6, v189                               // 00000000766C: D1CB00BD 06F60D09
	v_fma_f32 v190, v10, v6, v190                              // 000000007674: D1CB00BE 06FA0D0A
	v_fma_f32 v191, v11, v6, v191                              // 00000000767C: D1CB00BF 06FE0D0B
	v_mul_f32_dpp v4, v28, v56 row_newbcast:0 row_mask:0xf bank_mask:0xf// 000000007684: 0A0870FA FF01501C
	v_mfma_f32_16x16x32_fp8_fp8 v[8:11], a[144:145], a[64:65], 0// 00000000768C: D3F30008 1A028190
	s_add_u32 s60, 0x180, s80                                  // 000000007694: 803C50FF 00000180
	s_cmp_lt_u32 s60, s81                                      // 00000000769C: BF0A513C
	s_cselect_b32 s57, s57, 0                                  // 0000000076A0: 85398039
	s_cselect_b32 s3, s3, 0                                    // 0000000076A4: 85038003
	v_mfma_f32_16x16x32_fp8_fp8 v[8:11], a[146:147], a[66:67], v[8:11]// 0000000076A8: D3F30008 1C228592
	s_add_u32 s60, 0x100, s80                                  // 0000000076B0: 803C50FF 00000100
	s_cmp_lt_u32 s60, s81                                      // 0000000076B8: BF0A513C
	s_cselect_b32 s58, s58, 0                                  // 0000000076BC: 853A803A
	v_mfma_f32_16x16x32_fp8_fp8 v[8:11], a[148:149], a[68:69], v[8:11]// 0000000076C0: D3F30008 1C228994
	s_add_u32 s60, 0x100, s80                                  // 0000000076C8: 803C50FF 00000100
	s_cmp_lt_u32 s60, s81                                      // 0000000076D0: BF0A513C
	s_cselect_b32 s83, s83, 0                                  // 0000000076D4: 85538053
	s_cselect_b32 s4, s4, 0                                    // 0000000076D8: 85048004
	v_mfma_f32_16x16x32_fp8_fp8 v[8:11], a[150:151], a[70:71], v[8:11]// 0000000076DC: D3F30008 1C228D96
	s_add_u32 s24, s58, s24                                    // 0000000076E4: 8018183A
	s_addc_u32 s25, 0, s25                                     // 0000000076E8: 82191980
	v_fma_f32 v224, v12, v6, v224                              // 0000000076EC: D1CB00E0 07820D0C
	v_fma_f32 v225, v13, v6, v225                              // 0000000076F4: D1CB00E1 07860D0D
	v_fma_f32 v226, v14, v6, v226                              // 0000000076FC: D1CB00E2 078A0D0E
	v_fma_f32 v227, v15, v6, v227                              // 000000007704: D1CB00E3 078E0D0F
	v_mfma_f32_16x16x32_fp8_fp8 v[12:15], a[152:153], a[64:65], 0// 00000000770C: D3F3000C 1A028198
	s_add_u32 s20, s57, s20                                    // 000000007714: 80141439
	s_addc_u32 s21, 0, s21                                     // 000000007718: 82151580
	s_add_u32 s28, s3, s28                                     // 00000000771C: 801C1C03
	s_addc_u32 s29, 0, s29                                     // 000000007720: 821D1D80
	v_mfma_f32_16x16x32_fp8_fp8 v[12:15], a[154:155], a[66:67], v[12:15]// 000000007724: D3F3000C 1C32859A
	s_add_u32 s84, s83, s84                                    // 00000000772C: 80545453
	s_addc_u32 s85, 0, s85                                     // 000000007730: 82555580
	v_mfma_f32_16x16x32_fp8_fp8 v[12:15], a[156:157], a[68:69], v[12:15]// 000000007734: D3F3000C 1C32899C
	s_add_u32 s32, s4, s32                                     // 00000000773C: 80202004
	s_addc_u32 s33, 0, s33                                     // 000000007740: 82212180
	v_mfma_f32_16x16x32_fp8_fp8 v[12:15], a[158:159], a[70:71], v[12:15]// 000000007744: D3F3000C 1C328D9E
	v_fma_f32 v192, v8, v4, v192                               // 00000000774C: D1CB00C0 07020908
	v_fma_f32 v193, v9, v4, v193                               // 000000007754: D1CB00C1 07060909
	v_fma_f32 v194, v10, v4, v194                              // 00000000775C: D1CB00C2 070A090A
	v_fma_f32 v195, v11, v4, v195                              // 000000007764: D1CB00C3 070E090B
	v_fma_f32 v228, v12, v4, v228                              // 00000000776C: D1CB00E4 0792090C
	v_fma_f32 v229, v13, v4, v229                              // 000000007774: D1CB00E5 0796090D
	v_fma_f32 v230, v14, v4, v230                              // 00000000777C: D1CB00E6 079A090E
	v_fma_f32 v231, v15, v4, v231                              // 000000007784: D1CB00E7 079E090F
	s_addk_i32 s80, 0x80                                       // 00000000778C: B7500080
	s_cmp_lt_i32 s80, s81                                      // 000000007790: BF045150
	s_cbranch_scc0 label_167A                                  // 000000007794: BF840314
	s_waitcnt vmcnt(32) lgkmcnt(0)                             // 000000007798: BF8C8070
	v_mul_f32_dpp v4, v26, v57 row_newbcast:0 row_mask:0xf bank_mask:0xf// 00000000779C: 0A0872FA FF01501A
	v_mfma_f32_16x16x32_fp8_fp8 v[8:11], a[160:161], a[72:73], 0// 0000000077A4: D3F30008 1A0291A0
	buffer_load_dword v24, v22, s[32:35], 0 offen              // 0000000077AC: E0501000 80081816
	v_mfma_f32_16x16x32_fp8_fp8 v[8:11], a[162:163], a[74:75], v[8:11]// 0000000077B4: D3F30008 1C2295A2
	buffer_load_dwordx4 a[144:147], v84, s[24:27], 0 offen     // 0000000077BC: E05C1000 80869054
	v_mfma_f32_16x16x32_fp8_fp8 v[8:11], a[164:165], a[76:77], v[8:11]// 0000000077C4: D3F30008 1C2299A4
	v_mfma_f32_16x16x32_fp8_fp8 v[8:11], a[166:167], a[78:79], v[8:11]// 0000000077CC: D3F30008 1C229DA6
	v_mfma_f32_16x16x32_fp8_fp8 v[12:15], a[168:169], a[72:73], 0// 0000000077D4: D3F3000C 1A0291A8
	v_mfma_f32_16x16x32_fp8_fp8 v[12:15], a[170:171], a[74:75], v[12:15]// 0000000077DC: D3F3000C 1C3295AA
	buffer_load_dwordx4 a[148:151], v84, s[24:27], 0 offen offset:1024// 0000000077E4: E05C1400 80869454
	v_mfma_f32_16x16x32_fp8_fp8 v[12:15], a[172:173], a[76:77], v[12:15]// 0000000077EC: D3F3000C 1C3299AC
	v_mfma_f32_16x16x32_fp8_fp8 v[12:15], a[174:175], a[78:79], v[12:15]// 0000000077F4: D3F3000C 1C329DAE
	v_fma_f32 v88, v8, v4, v88                                 // 0000000077FC: D1CB0058 05620908
	v_fma_f32 v89, v9, v4, v89                                 // 000000007804: D1CB0059 05660909
	v_fma_f32 v90, v10, v4, v90                                // 00000000780C: D1CB005A 056A090A
	v_fma_f32 v91, v11, v4, v91                                // 000000007814: D1CB005B 056E090B
	v_mul_f32_dpp v6, v26, v58 row_newbcast:0 row_mask:0xf bank_mask:0xf// 00000000781C: 0A0C74FA FF01501A
	v_mfma_f32_16x16x32_fp8_fp8 v[8:11], a[160:161], a[80:81], 0// 000000007824: D3F30008 1A02A1A0
	v_mfma_f32_16x16x32_fp8_fp8 v[8:11], a[162:163], a[82:83], v[8:11]// 00000000782C: D3F30008 1C22A5A2
	buffer_load_dwordx4 a[152:155], v85, s[24:27], 0 offen     // 000000007834: E05C1000 80869855
	v_mfma_f32_16x16x32_fp8_fp8 v[8:11], a[164:165], a[84:85], v[8:11]// 00000000783C: D3F30008 1C22A9A4
	v_mfma_f32_16x16x32_fp8_fp8 v[8:11], a[166:167], a[86:87], v[8:11]// 000000007844: D3F30008 1C22ADA6
	v_fma_f32 v124, v12, v4, v124                              // 00000000784C: D1CB007C 05F2090C
	v_fma_f32 v125, v13, v4, v125                              // 000000007854: D1CB007D 05F6090D
	v_fma_f32 v126, v14, v4, v126                              // 00000000785C: D1CB007E 05FA090E
	v_fma_f32 v127, v15, v4, v127                              // 000000007864: D1CB007F 05FE090F
	v_mfma_f32_16x16x32_fp8_fp8 v[12:15], a[168:169], a[80:81], 0// 00000000786C: D3F3000C 1A02A1A8
	v_mfma_f32_16x16x32_fp8_fp8 v[12:15], a[170:171], a[82:83], v[12:15]// 000000007874: D3F3000C 1C32A5AA
	buffer_load_dwordx4 a[156:159], v85, s[24:27], 0 offen offset:1024// 00000000787C: E05C1400 80869C55
	buffer_load_dword v66, s[20:23], 0 offen lds               // 000000007884: E0511000 80050042
	s_add_u32 m0, 0x100, s49                                   // 00000000788C: 807C31FF 00000100
	v_mfma_f32_16x16x32_fp8_fp8 v[12:15], a[172:173], a[84:85], v[12:15]// 000000007894: D3F3000C 1C32A9AC
	v_mfma_f32_16x16x32_fp8_fp8 v[12:15], a[174:175], a[86:87], v[12:15]// 00000000789C: D3F3000C 1C32ADAE
	buffer_load_dword v67, s[20:23], 0 offen lds               // 0000000078A4: E0511000 80050043
	s_add_u32 m0, 0x200, s49                                   // 0000000078AC: 807C31FF 00000200
	v_fma_f32 v92, v8, v6, v92                                 // 0000000078B4: D1CB005C 05720D08
	v_fma_f32 v93, v9, v6, v93                                 // 0000000078BC: D1CB005D 05760D09
	v_fma_f32 v94, v10, v6, v94                                // 0000000078C4: D1CB005E 057A0D0A
	v_fma_f32 v95, v11, v6, v95                                // 0000000078CC: D1CB005F 057E0D0B
	v_mul_f32_dpp v4, v26, v59 row_newbcast:0 row_mask:0xf bank_mask:0xf// 0000000078D4: 0A0876FA FF01501A
	v_mfma_f32_16x16x32_fp8_fp8 v[8:11], a[160:161], a[88:89], 0// 0000000078DC: D3F30008 1A02B1A0
	v_mfma_f32_16x16x32_fp8_fp8 v[8:11], a[162:163], a[90:91], v[8:11]// 0000000078E4: D3F30008 1C22B5A2
	buffer_load_dword v68, s[20:23], 0 offen lds               // 0000000078EC: E0511000 80050044
	s_add_u32 m0, 0x300, s49                                   // 0000000078F4: 807C31FF 00000300
	v_mfma_f32_16x16x32_fp8_fp8 v[8:11], a[164:165], a[92:93], v[8:11]// 0000000078FC: D3F30008 1C22B9A4
	v_mfma_f32_16x16x32_fp8_fp8 v[8:11], a[166:167], a[94:95], v[8:11]// 000000007904: D3F30008 1C22BDA6
	buffer_load_dword v69, s[20:23], 0 offen lds               // 00000000790C: E0511000 80050045
	s_add_u32 m0, 0x400, s49                                   // 000000007914: 807C31FF 00000400
	v_fma_f32 v128, v12, v6, v128                              // 00000000791C: D1CB0080 06020D0C
	v_fma_f32 v129, v13, v6, v129                              // 000000007924: D1CB0081 06060D0D
	v_fma_f32 v130, v14, v6, v130                              // 00000000792C: D1CB0082 060A0D0E
	v_fma_f32 v131, v15, v6, v131                              // 000000007934: D1CB0083 060E0D0F
	v_mfma_f32_16x16x32_fp8_fp8 v[12:15], a[168:169], a[88:89], 0// 00000000793C: D3F3000C 1A02B1A8
	v_mfma_f32_16x16x32_fp8_fp8 v[12:15], a[170:171], a[90:91], v[12:15]// 000000007944: D3F3000C 1C32B5AA
	buffer_load_dword v70, s[20:23], 0 offen lds               // 00000000794C: E0511000 80050046
	s_add_u32 m0, 0x500, s49                                   // 000000007954: 807C31FF 00000500
	v_mfma_f32_16x16x32_fp8_fp8 v[12:15], a[172:173], a[92:93], v[12:15]// 00000000795C: D3F3000C 1C32B9AC
	v_mfma_f32_16x16x32_fp8_fp8 v[12:15], a[174:175], a[94:95], v[12:15]// 000000007964: D3F3000C 1C32BDAE
	buffer_load_dword v71, s[20:23], 0 offen lds               // 00000000796C: E0511000 80050047
	s_add_u32 m0, 0x600, s49                                   // 000000007974: 807C31FF 00000600
	v_fma_f32 v96, v8, v4, v96                                 // 00000000797C: D1CB0060 05820908
	v_fma_f32 v97, v9, v4, v97                                 // 000000007984: D1CB0061 05860909
	v_fma_f32 v98, v10, v4, v98                                // 00000000798C: D1CB0062 058A090A
	v_fma_f32 v99, v11, v4, v99                                // 000000007994: D1CB0063 058E090B
	v_mul_f32_dpp v6, v26, v60 row_newbcast:0 row_mask:0xf bank_mask:0xf// 00000000799C: 0A0C78FA FF01501A
	v_mfma_f32_16x16x32_fp8_fp8 v[8:11], a[160:161], a[96:97], 0// 0000000079A4: D3F30008 1A02C1A0
	v_mfma_f32_16x16x32_fp8_fp8 v[8:11], a[162:163], a[98:99], v[8:11]// 0000000079AC: D3F30008 1C22C5A2
	buffer_load_dword v72, s[20:23], 0 offen lds               // 0000000079B4: E0511000 80050048
	s_add_u32 m0, 0x700, s49                                   // 0000000079BC: 807C31FF 00000700
	v_mfma_f32_16x16x32_fp8_fp8 v[8:11], a[164:165], a[100:101], v[8:11]// 0000000079C4: D3F30008 1C22C9A4
	v_mfma_f32_16x16x32_fp8_fp8 v[8:11], a[166:167], a[102:103], v[8:11]// 0000000079CC: D3F30008 1C22CDA6
	buffer_load_dword v73, s[20:23], 0 offen lds               // 0000000079D4: E0511000 80050049
	s_add_u32 m0, 0x800, s49                                   // 0000000079DC: 807C31FF 00000800
	v_fma_f32 v132, v12, v4, v132                              // 0000000079E4: D1CB0084 0612090C
	v_fma_f32 v133, v13, v4, v133                              // 0000000079EC: D1CB0085 0616090D
	v_fma_f32 v134, v14, v4, v134                              // 0000000079F4: D1CB0086 061A090E
	v_fma_f32 v135, v15, v4, v135                              // 0000000079FC: D1CB0087 061E090F
	v_mfma_f32_16x16x32_fp8_fp8 v[12:15], a[168:169], a[96:97], 0// 000000007A04: D3F3000C 1A02C1A8
	v_mfma_f32_16x16x32_fp8_fp8 v[12:15], a[170:171], a[98:99], v[12:15]// 000000007A0C: D3F3000C 1C32C5AA
	buffer_load_dword v74, s[20:23], 0 offen lds               // 000000007A14: E0511000 8005004A
	s_add_u32 m0, 0x900, s49                                   // 000000007A1C: 807C31FF 00000900
	v_mfma_f32_16x16x32_fp8_fp8 v[12:15], a[172:173], a[100:101], v[12:15]// 000000007A24: D3F3000C 1C32C9AC
	v_mfma_f32_16x16x32_fp8_fp8 v[12:15], a[174:175], a[102:103], v[12:15]// 000000007A2C: D3F3000C 1C32CDAE
	buffer_load_dword v75, s[20:23], 0 offen lds               // 000000007A34: E0511000 8005004B
	s_add_u32 m0, 0xa00, s49                                   // 000000007A3C: 807C31FF 00000A00
	v_fma_f32 v100, v8, v6, v100                               // 000000007A44: D1CB0064 05920D08
	v_fma_f32 v101, v9, v6, v101                               // 000000007A4C: D1CB0065 05960D09
	v_fma_f32 v102, v10, v6, v102                              // 000000007A54: D1CB0066 059A0D0A
	v_fma_f32 v103, v11, v6, v103                              // 000000007A5C: D1CB0067 059E0D0B
	v_mul_f32_dpp v4, v26, v61 row_newbcast:0 row_mask:0xf bank_mask:0xf// 000000007A64: 0A087AFA FF01501A
	v_mfma_f32_16x16x32_fp8_fp8 v[8:11], a[160:161], a[104:105], 0// 000000007A6C: D3F30008 1A02D1A0
	v_mfma_f32_16x16x32_fp8_fp8 v[8:11], a[162:163], a[106:107], v[8:11]// 000000007A74: D3F30008 1C22D5A2
	buffer_load_dword v76, s[20:23], 0 offen lds               // 000000007A7C: E0511000 8005004C
	s_add_u32 m0, 0xb00, s49                                   // 000000007A84: 807C31FF 00000B00
	v_mfma_f32_16x16x32_fp8_fp8 v[8:11], a[164:165], a[108:109], v[8:11]// 000000007A8C: D3F30008 1C22D9A4
	v_mfma_f32_16x16x32_fp8_fp8 v[8:11], a[166:167], a[110:111], v[8:11]// 000000007A94: D3F30008 1C22DDA6
	buffer_load_dword v77, s[20:23], 0 offen lds               // 000000007A9C: E0511000 8005004D
	s_add_u32 m0, 0xc00, s49                                   // 000000007AA4: 807C31FF 00000C00
	v_fma_f32 v136, v12, v6, v136                              // 000000007AAC: D1CB0088 06220D0C
	v_fma_f32 v137, v13, v6, v137                              // 000000007AB4: D1CB0089 06260D0D
	v_fma_f32 v138, v14, v6, v138                              // 000000007ABC: D1CB008A 062A0D0E
	v_fma_f32 v139, v15, v6, v139                              // 000000007AC4: D1CB008B 062E0D0F
	v_mfma_f32_16x16x32_fp8_fp8 v[12:15], a[168:169], a[104:105], 0// 000000007ACC: D3F3000C 1A02D1A8
	v_mfma_f32_16x16x32_fp8_fp8 v[12:15], a[170:171], a[106:107], v[12:15]// 000000007AD4: D3F3000C 1C32D5AA
	buffer_load_dword v78, s[20:23], 0 offen lds               // 000000007ADC: E0511000 8005004E
	s_add_u32 m0, 0xd00, s49                                   // 000000007AE4: 807C31FF 00000D00
	v_mfma_f32_16x16x32_fp8_fp8 v[12:15], a[172:173], a[108:109], v[12:15]// 000000007AEC: D3F3000C 1C32D9AC
	v_mfma_f32_16x16x32_fp8_fp8 v[12:15], a[174:175], a[110:111], v[12:15]// 000000007AF4: D3F3000C 1C32DDAE
	buffer_load_dword v79, s[20:23], 0 offen lds               // 000000007AFC: E0511000 8005004F
	s_add_u32 m0, 0xe00, s49                                   // 000000007B04: 807C31FF 00000E00
	v_fma_f32 v104, v8, v4, v104                               // 000000007B0C: D1CB0068 05A20908
	v_fma_f32 v105, v9, v4, v105                               // 000000007B14: D1CB0069 05A60909
	v_fma_f32 v106, v10, v4, v106                              // 000000007B1C: D1CB006A 05AA090A
	v_fma_f32 v107, v11, v4, v107                              // 000000007B24: D1CB006B 05AE090B
	v_mul_f32_dpp v6, v26, v62 row_newbcast:0 row_mask:0xf bank_mask:0xf// 000000007B2C: 0A0C7CFA FF01501A
	v_mfma_f32_16x16x32_fp8_fp8 v[8:11], a[160:161], a[112:113], 0// 000000007B34: D3F30008 1A02E1A0
	v_mfma_f32_16x16x32_fp8_fp8 v[8:11], a[162:163], a[114:115], v[8:11]// 000000007B3C: D3F30008 1C22E5A2
	buffer_load_dword v80, s[20:23], 0 offen lds               // 000000007B44: E0511000 80050050
	s_add_u32 m0, 0xf00, s49                                   // 000000007B4C: 807C31FF 00000F00
	v_mfma_f32_16x16x32_fp8_fp8 v[8:11], a[164:165], a[116:117], v[8:11]// 000000007B54: D3F30008 1C22E9A4
	v_mfma_f32_16x16x32_fp8_fp8 v[8:11], a[166:167], a[118:119], v[8:11]// 000000007B5C: D3F30008 1C22EDA6
	buffer_load_dword v81, s[20:23], 0 offen lds               // 000000007B64: E0511000 80050051
	s_add_u32 m0, 0x1000, s49                                  // 000000007B6C: 807C31FF 00001000
	v_fma_f32 v140, v12, v4, v140                              // 000000007B74: D1CB008C 0632090C
	v_fma_f32 v141, v13, v4, v141                              // 000000007B7C: D1CB008D 0636090D
	v_fma_f32 v142, v14, v4, v142                              // 000000007B84: D1CB008E 063A090E
	v_fma_f32 v143, v15, v4, v143                              // 000000007B8C: D1CB008F 063E090F
	v_mfma_f32_16x16x32_fp8_fp8 v[12:15], a[168:169], a[112:113], 0// 000000007B94: D3F3000C 1A02E1A8
	v_mfma_f32_16x16x32_fp8_fp8 v[12:15], a[170:171], a[114:115], v[12:15]// 000000007B9C: D3F3000C 1C32E5AA
	buffer_load_dword v82, s[20:23], 0 offen lds               // 000000007BA4: E0511000 80050052
	s_add_u32 m0, 0x1100, s49                                  // 000000007BAC: 807C31FF 00001100
	v_mfma_f32_16x16x32_fp8_fp8 v[12:15], a[172:173], a[116:117], v[12:15]// 000000007BB4: D3F3000C 1C32E9AC
	v_mfma_f32_16x16x32_fp8_fp8 v[12:15], a[174:175], a[118:119], v[12:15]// 000000007BBC: D3F3000C 1C32EDAE
	buffer_load_dword v83, s[20:23], 0 offen lds               // 000000007BC4: E0511000 80050053
	s_add_u32 m0, 0, s50                                       // 000000007BCC: 807C3280
	v_fma_f32 v108, v8, v6, v108                               // 000000007BD0: D1CB006C 05B20D08
	v_fma_f32 v109, v9, v6, v109                               // 000000007BD8: D1CB006D 05B60D09
	v_fma_f32 v110, v10, v6, v110                              // 000000007BE0: D1CB006E 05BA0D0A
	v_fma_f32 v111, v11, v6, v111                              // 000000007BE8: D1CB006F 05BE0D0B
	v_mul_f32_dpp v4, v26, v63 row_newbcast:0 row_mask:0xf bank_mask:0xf// 000000007BF0: 0A087EFA FF01501A
	v_mfma_f32_16x16x32_fp8_fp8 v[8:11], a[160:161], a[120:121], 0// 000000007BF8: D3F30008 1A02F1A0
	v_mfma_f32_16x16x32_fp8_fp8 v[8:11], a[162:163], a[122:123], v[8:11]// 000000007C00: D3F30008 1C22F5A2
	buffer_load_dword v48, v30, s[28:31], 0 offen              // 000000007C08: E0501000 8007301E
	v_mfma_f32_16x16x32_fp8_fp8 v[8:11], a[164:165], a[124:125], v[8:11]// 000000007C10: D3F30008 1C22F9A4
	v_mfma_f32_16x16x32_fp8_fp8 v[8:11], a[166:167], a[126:127], v[8:11]// 000000007C18: D3F30008 1C22FDA6
	buffer_load_dword v49, v31, s[28:31], 0 offen              // 000000007C20: E0501000 8007311F
	v_fma_f32 v144, v12, v6, v144                              // 000000007C28: D1CB0090 06420D0C
	v_fma_f32 v145, v13, v6, v145                              // 000000007C30: D1CB0091 06460D0D
	v_fma_f32 v146, v14, v6, v146                              // 000000007C38: D1CB0092 064A0D0E
	v_fma_f32 v147, v15, v6, v147                              // 000000007C40: D1CB0093 064E0D0F
	v_mfma_f32_16x16x32_fp8_fp8 v[12:15], a[168:169], a[120:121], 0// 000000007C48: D3F3000C 1A02F1A8
	v_mfma_f32_16x16x32_fp8_fp8 v[12:15], a[170:171], a[122:123], v[12:15]// 000000007C50: D3F3000C 1C32F5AA
	buffer_load_dword v50, v32, s[28:31], 0 offen              // 000000007C58: E0501000 80073220
	v_mfma_f32_16x16x32_fp8_fp8 v[12:15], a[172:173], a[124:125], v[12:15]// 000000007C60: D3F3000C 1C32F9AC
	v_mfma_f32_16x16x32_fp8_fp8 v[12:15], a[174:175], a[126:127], v[12:15]// 000000007C68: D3F3000C 1C32FDAE
	buffer_load_dword v51, v33, s[28:31], 0 offen              // 000000007C70: E0501000 80073321
	v_fma_f32 v112, v8, v4, v112                               // 000000007C78: D1CB0070 05C20908
	v_fma_f32 v113, v9, v4, v113                               // 000000007C80: D1CB0071 05C60909
	v_fma_f32 v114, v10, v4, v114                              // 000000007C88: D1CB0072 05CA090A
	v_fma_f32 v115, v11, v4, v115                              // 000000007C90: D1CB0073 05CE090B
	v_mul_f32_dpp v6, v26, v64 row_newbcast:0 row_mask:0xf bank_mask:0xf// 000000007C98: 0A0C80FA FF01501A
	v_mfma_f32_16x16x32_fp8_fp8 v[8:11], a[160:161], a[128:129], 0// 000000007CA0: D3F30008 1A0301A0
	v_mfma_f32_16x16x32_fp8_fp8 v[8:11], a[162:163], a[130:131], v[8:11]// 000000007CA8: D3F30008 1C2305A2
	buffer_load_dword v52, v34, s[28:31], 0 offen              // 000000007CB0: E0501000 80073422
	v_mfma_f32_16x16x32_fp8_fp8 v[8:11], a[164:165], a[132:133], v[8:11]// 000000007CB8: D3F30008 1C2309A4
	v_mfma_f32_16x16x32_fp8_fp8 v[8:11], a[166:167], a[134:135], v[8:11]// 000000007CC0: D3F30008 1C230DA6
	buffer_load_dword v53, v35, s[28:31], 0 offen              // 000000007CC8: E0501000 80073523
	v_fma_f32 v148, v12, v4, v148                              // 000000007CD0: D1CB0094 0652090C
	v_fma_f32 v149, v13, v4, v149                              // 000000007CD8: D1CB0095 0656090D
	v_fma_f32 v150, v14, v4, v150                              // 000000007CE0: D1CB0096 065A090E
	v_fma_f32 v151, v15, v4, v151                              // 000000007CE8: D1CB0097 065E090F
	v_mfma_f32_16x16x32_fp8_fp8 v[12:15], a[168:169], a[128:129], 0// 000000007CF0: D3F3000C 1A0301A8
	v_mfma_f32_16x16x32_fp8_fp8 v[12:15], a[170:171], a[130:131], v[12:15]// 000000007CF8: D3F3000C 1C3305AA
	buffer_load_dword v54, v36, s[28:31], 0 offen              // 000000007D00: E0501000 80073624
	v_mfma_f32_16x16x32_fp8_fp8 v[12:15], a[172:173], a[132:133], v[12:15]// 000000007D08: D3F3000C 1C3309AC
	v_mfma_f32_16x16x32_fp8_fp8 v[12:15], a[174:175], a[134:135], v[12:15]// 000000007D10: D3F3000C 1C330DAE
	buffer_load_dword v55, v37, s[28:31], 0 offen              // 000000007D18: E0501000 80073725
	v_fma_f32 v116, v8, v6, v116                               // 000000007D20: D1CB0074 05D20D08
	v_fma_f32 v117, v9, v6, v117                               // 000000007D28: D1CB0075 05D60D09
	v_fma_f32 v118, v10, v6, v118                              // 000000007D30: D1CB0076 05DA0D0A
	v_fma_f32 v119, v11, v6, v119                              // 000000007D38: D1CB0077 05DE0D0B
	v_mul_f32_dpp v4, v26, v65 row_newbcast:0 row_mask:0xf bank_mask:0xf// 000000007D40: 0A0882FA FF01501A
	v_mfma_f32_16x16x32_fp8_fp8 v[8:11], a[160:161], a[136:137], 0// 000000007D48: D3F30008 1A0311A0
	v_mfma_f32_16x16x32_fp8_fp8 v[8:11], a[162:163], a[138:139], v[8:11]// 000000007D50: D3F30008 1C2315A2
	buffer_load_dword v56, v38, s[28:31], 0 offen              // 000000007D58: E0501000 80073826
	v_mfma_f32_16x16x32_fp8_fp8 v[8:11], a[164:165], a[140:141], v[8:11]// 000000007D60: D3F30008 1C2319A4
	v_mfma_f32_16x16x32_fp8_fp8 v[8:11], a[166:167], a[142:143], v[8:11]// 000000007D68: D3F30008 1C231DA6
	v_fma_f32 v152, v12, v6, v152                              // 000000007D70: D1CB0098 06620D0C
	v_fma_f32 v153, v13, v6, v153                              // 000000007D78: D1CB0099 06660D0D
	v_fma_f32 v154, v14, v6, v154                              // 000000007D80: D1CB009A 066A0D0E
	v_fma_f32 v155, v15, v6, v155                              // 000000007D88: D1CB009B 066E0D0F
	v_mfma_f32_16x16x32_fp8_fp8 v[12:15], a[168:169], a[136:137], 0// 000000007D90: D3F3000C 1A0311A8
	v_mfma_f32_16x16x32_fp8_fp8 v[12:15], a[170:171], a[138:139], v[12:15]// 000000007D98: D3F3000C 1C3315AA
	v_mfma_f32_16x16x32_fp8_fp8 v[12:15], a[172:173], a[140:141], v[12:15]// 000000007DA0: D3F3000C 1C3319AC
	v_mfma_f32_16x16x32_fp8_fp8 v[12:15], a[174:175], a[142:143], v[12:15]// 000000007DA8: D3F3000C 1C331DAE
	v_fma_f32 v120, v8, v4, v120                               // 000000007DB0: D1CB0078 05E20908
	v_fma_f32 v121, v9, v4, v121                               // 000000007DB8: D1CB0079 05E60909
	v_fma_f32 v122, v10, v4, v122                              // 000000007DC0: D1CB007A 05EA090A
	v_fma_f32 v123, v11, v4, v123                              // 000000007DC8: D1CB007B 05EE090B
	v_fma_f32 v156, v12, v4, v156                              // 000000007DD0: D1CB009C 0672090C
	v_fma_f32 v157, v13, v4, v157                              // 000000007DD8: D1CB009D 0676090D
	v_fma_f32 v158, v14, v4, v158                              // 000000007DE0: D1CB009E 067A090E
	v_fma_f32 v159, v15, v4, v159                              // 000000007DE8: D1CB009F 067E090F
	s_waitcnt vmcnt(32)                                        // 000000007DF0: BF8C8F70
	s_barrier                                                  // 000000007DF4: BF8A0000
	v_mul_f32_dpp v4, v29, v57 row_newbcast:0 row_mask:0xf bank_mask:0xf// 000000007DF8: 0A0872FA FF01501D
	v_mfma_f32_16x16x32_fp8_fp8 v[8:11], a[176:177], a[72:73], 0// 000000007E00: D3F30008 1A0291B0
	buffer_load_dword v27, v23, s[32:35], 0 offen              // 000000007E08: E0501000 80081B17
	v_mfma_f32_16x16x32_fp8_fp8 v[8:11], a[178:179], a[74:75], v[8:11]// 000000007E10: D3F30008 1C2295B2
	buffer_load_dwordx4 a[160:163], v84, s[84:87], 0 offen     // 000000007E18: E05C1000 8095A054
	v_mfma_f32_16x16x32_fp8_fp8 v[8:11], a[180:181], a[76:77], v[8:11]// 000000007E20: D3F30008 1C2299B4
	v_mfma_f32_16x16x32_fp8_fp8 v[8:11], a[182:183], a[78:79], v[8:11]// 000000007E28: D3F30008 1C229DB6
	ds_read_b128 a[0:3], v2                                    // 000000007E30: DBFE0000 00000002
	ds_read_b128 a[4:7], v2 offset:64                          // 000000007E38: DBFE0040 04000002
	v_mfma_f32_16x16x32_fp8_fp8 v[12:15], a[184:185], a[72:73], 0// 000000007E40: D3F3000C 1A0291B8
	v_mfma_f32_16x16x32_fp8_fp8 v[12:15], a[186:187], a[74:75], v[12:15]// 000000007E48: D3F3000C 1C3295BA
	buffer_load_dwordx4 a[164:167], v84, s[84:87], 0 offen offset:1024// 000000007E50: E05C1400 8095A454
	v_mfma_f32_16x16x32_fp8_fp8 v[12:15], a[188:189], a[76:77], v[12:15]// 000000007E58: D3F3000C 1C3299BC
	v_mfma_f32_16x16x32_fp8_fp8 v[12:15], a[190:191], a[78:79], v[12:15]// 000000007E60: D3F3000C 1C329DBE
	ds_read_b128 a[8:11], v2 offset:512                        // 000000007E68: DBFE0200 08000002
	ds_read_b128 a[12:15], v2 offset:576                       // 000000007E70: DBFE0240 0C000002
	v_fma_f32 v160, v8, v4, v160                               // 000000007E78: D1CB00A0 06820908
	v_fma_f32 v161, v9, v4, v161                               // 000000007E80: D1CB00A1 06860909
	v_fma_f32 v162, v10, v4, v162                              // 000000007E88: D1CB00A2 068A090A
	v_fma_f32 v163, v11, v4, v163                              // 000000007E90: D1CB00A3 068E090B
	v_mul_f32_dpp v6, v29, v58 row_newbcast:0 row_mask:0xf bank_mask:0xf// 000000007E98: 0A0C74FA FF01501D
	v_mfma_f32_16x16x32_fp8_fp8 v[8:11], a[176:177], a[80:81], 0// 000000007EA0: D3F30008 1A02A1B0
	v_mfma_f32_16x16x32_fp8_fp8 v[8:11], a[178:179], a[82:83], v[8:11]// 000000007EA8: D3F30008 1C22A5B2
	buffer_load_dwordx4 a[168:171], v85, s[84:87], 0 offen     // 000000007EB0: E05C1000 8095A855
	v_mfma_f32_16x16x32_fp8_fp8 v[8:11], a[180:181], a[84:85], v[8:11]// 000000007EB8: D3F30008 1C22A9B4
	v_mfma_f32_16x16x32_fp8_fp8 v[8:11], a[182:183], a[86:87], v[8:11]// 000000007EC0: D3F30008 1C22ADB6
	ds_read_b128 a[16:19], v2 offset:1024                      // 000000007EC8: DBFE0400 10000002
	ds_read_b128 a[20:23], v2 offset:1088                      // 000000007ED0: DBFE0440 14000002
	v_fma_f32 v196, v12, v4, v196                              // 000000007ED8: D1CB00C4 0712090C
	v_fma_f32 v197, v13, v4, v197                              // 000000007EE0: D1CB00C5 0716090D
	v_fma_f32 v198, v14, v4, v198                              // 000000007EE8: D1CB00C6 071A090E
	v_fma_f32 v199, v15, v4, v199                              // 000000007EF0: D1CB00C7 071E090F
	v_mfma_f32_16x16x32_fp8_fp8 v[12:15], a[184:185], a[80:81], 0// 000000007EF8: D3F3000C 1A02A1B8
	v_mfma_f32_16x16x32_fp8_fp8 v[12:15], a[186:187], a[82:83], v[12:15]// 000000007F00: D3F3000C 1C32A5BA
	buffer_load_dwordx4 a[172:175], v85, s[84:87], 0 offen offset:1024// 000000007F08: E05C1400 8095AC55
	v_mfma_f32_16x16x32_fp8_fp8 v[12:15], a[188:189], a[84:85], v[12:15]// 000000007F10: D3F3000C 1C32A9BC
	v_mfma_f32_16x16x32_fp8_fp8 v[12:15], a[190:191], a[86:87], v[12:15]// 000000007F18: D3F3000C 1C32ADBE
	ds_read_b128 a[24:27], v2 offset:1536                      // 000000007F20: DBFE0600 18000002
	ds_read_b128 a[28:31], v2 offset:1600                      // 000000007F28: DBFE0640 1C000002
	v_fma_f32 v164, v8, v6, v164                               // 000000007F30: D1CB00A4 06920D08
	v_fma_f32 v165, v9, v6, v165                               // 000000007F38: D1CB00A5 06960D09
	v_fma_f32 v166, v10, v6, v166                              // 000000007F40: D1CB00A6 069A0D0A
	v_fma_f32 v167, v11, v6, v167                              // 000000007F48: D1CB00A7 069E0D0B
	v_mul_f32_dpp v4, v29, v59 row_newbcast:0 row_mask:0xf bank_mask:0xf// 000000007F50: 0A0876FA FF01501D
	v_mfma_f32_16x16x32_fp8_fp8 v[8:11], a[176:177], a[88:89], 0// 000000007F58: D3F30008 1A02B1B0
	v_mfma_f32_16x16x32_fp8_fp8 v[8:11], a[178:179], a[90:91], v[8:11]// 000000007F60: D3F30008 1C22B5B2
	v_mfma_f32_16x16x32_fp8_fp8 v[8:11], a[180:181], a[92:93], v[8:11]// 000000007F68: D3F30008 1C22B9B4
	v_mfma_f32_16x16x32_fp8_fp8 v[8:11], a[182:183], a[94:95], v[8:11]// 000000007F70: D3F30008 1C22BDB6
	ds_read_b128 a[32:35], v2 offset:2048                      // 000000007F78: DBFE0800 20000002
	ds_read_b128 a[36:39], v2 offset:2112                      // 000000007F80: DBFE0840 24000002
	v_fma_f32 v200, v12, v6, v200                              // 000000007F88: D1CB00C8 07220D0C
	v_fma_f32 v201, v13, v6, v201                              // 000000007F90: D1CB00C9 07260D0D
	v_fma_f32 v202, v14, v6, v202                              // 000000007F98: D1CB00CA 072A0D0E
	v_fma_f32 v203, v15, v6, v203                              // 000000007FA0: D1CB00CB 072E0D0F
	v_mfma_f32_16x16x32_fp8_fp8 v[12:15], a[184:185], a[88:89], 0// 000000007FA8: D3F3000C 1A02B1B8
	v_mfma_f32_16x16x32_fp8_fp8 v[12:15], a[186:187], a[90:91], v[12:15]// 000000007FB0: D3F3000C 1C32B5BA
	v_mfma_f32_16x16x32_fp8_fp8 v[12:15], a[188:189], a[92:93], v[12:15]// 000000007FB8: D3F3000C 1C32B9BC
	v_mfma_f32_16x16x32_fp8_fp8 v[12:15], a[190:191], a[94:95], v[12:15]// 000000007FC0: D3F3000C 1C32BDBE
	ds_read_b128 a[40:43], v2 offset:2560                      // 000000007FC8: DBFE0A00 28000002
	ds_read_b128 a[44:47], v2 offset:2624                      // 000000007FD0: DBFE0A40 2C000002
	v_fma_f32 v168, v8, v4, v168                               // 000000007FD8: D1CB00A8 06A20908
	v_fma_f32 v169, v9, v4, v169                               // 000000007FE0: D1CB00A9 06A60909
	v_fma_f32 v170, v10, v4, v170                              // 000000007FE8: D1CB00AA 06AA090A
	v_fma_f32 v171, v11, v4, v171                              // 000000007FF0: D1CB00AB 06AE090B
	v_mul_f32_dpp v6, v29, v60 row_newbcast:0 row_mask:0xf bank_mask:0xf// 000000007FF8: 0A0C78FA FF01501D
	v_mfma_f32_16x16x32_fp8_fp8 v[8:11], a[176:177], a[96:97], 0// 000000008000: D3F30008 1A02C1B0
	v_mfma_f32_16x16x32_fp8_fp8 v[8:11], a[178:179], a[98:99], v[8:11]// 000000008008: D3F30008 1C22C5B2
	v_mfma_f32_16x16x32_fp8_fp8 v[8:11], a[180:181], a[100:101], v[8:11]// 000000008010: D3F30008 1C22C9B4
	v_mfma_f32_16x16x32_fp8_fp8 v[8:11], a[182:183], a[102:103], v[8:11]// 000000008018: D3F30008 1C22CDB6
	ds_read_b128 a[48:51], v2 offset:3072                      // 000000008020: DBFE0C00 30000002
	ds_read_b128 a[52:55], v2 offset:3136                      // 000000008028: DBFE0C40 34000002
	v_fma_f32 v204, v12, v4, v204                              // 000000008030: D1CB00CC 0732090C
	v_fma_f32 v205, v13, v4, v205                              // 000000008038: D1CB00CD 0736090D
	v_fma_f32 v206, v14, v4, v206                              // 000000008040: D1CB00CE 073A090E
	v_fma_f32 v207, v15, v4, v207                              // 000000008048: D1CB00CF 073E090F
	v_mfma_f32_16x16x32_fp8_fp8 v[12:15], a[184:185], a[96:97], 0// 000000008050: D3F3000C 1A02C1B8
	v_mfma_f32_16x16x32_fp8_fp8 v[12:15], a[186:187], a[98:99], v[12:15]// 000000008058: D3F3000C 1C32C5BA
	v_mfma_f32_16x16x32_fp8_fp8 v[12:15], a[188:189], a[100:101], v[12:15]// 000000008060: D3F3000C 1C32C9BC
	v_mfma_f32_16x16x32_fp8_fp8 v[12:15], a[190:191], a[102:103], v[12:15]// 000000008068: D3F3000C 1C32CDBE
	ds_read_b128 a[56:59], v2 offset:3584                      // 000000008070: DBFE0E00 38000002
	ds_read_b128 a[60:63], v2 offset:3648                      // 000000008078: DBFE0E40 3C000002
	v_fma_f32 v172, v8, v6, v172                               // 000000008080: D1CB00AC 06B20D08
	v_fma_f32 v173, v9, v6, v173                               // 000000008088: D1CB00AD 06B60D09
	v_fma_f32 v174, v10, v6, v174                              // 000000008090: D1CB00AE 06BA0D0A
	v_fma_f32 v175, v11, v6, v175                              // 000000008098: D1CB00AF 06BE0D0B
	v_mul_f32_dpp v4, v29, v61 row_newbcast:0 row_mask:0xf bank_mask:0xf// 0000000080A0: 0A087AFA FF01501D
	v_mfma_f32_16x16x32_fp8_fp8 v[8:11], a[176:177], a[104:105], 0// 0000000080A8: D3F30008 1A02D1B0
	v_mfma_f32_16x16x32_fp8_fp8 v[8:11], a[178:179], a[106:107], v[8:11]// 0000000080B0: D3F30008 1C22D5B2
	v_mfma_f32_16x16x32_fp8_fp8 v[8:11], a[180:181], a[108:109], v[8:11]// 0000000080B8: D3F30008 1C22D9B4
	v_mfma_f32_16x16x32_fp8_fp8 v[8:11], a[182:183], a[110:111], v[8:11]// 0000000080C0: D3F30008 1C22DDB6
	ds_read_b128 a[64:67], v2 offset:4096                      // 0000000080C8: DBFE1000 40000002
	ds_read_b128 a[68:71], v2 offset:4160                      // 0000000080D0: DBFE1040 44000002
	v_fma_f32 v208, v12, v6, v208                              // 0000000080D8: D1CB00D0 07420D0C
	v_fma_f32 v209, v13, v6, v209                              // 0000000080E0: D1CB00D1 07460D0D
	v_fma_f32 v210, v14, v6, v210                              // 0000000080E8: D1CB00D2 074A0D0E
	v_fma_f32 v211, v15, v6, v211                              // 0000000080F0: D1CB00D3 074E0D0F
	v_mfma_f32_16x16x32_fp8_fp8 v[12:15], a[184:185], a[104:105], 0// 0000000080F8: D3F3000C 1A02D1B8
	v_mfma_f32_16x16x32_fp8_fp8 v[12:15], a[186:187], a[106:107], v[12:15]// 000000008100: D3F3000C 1C32D5BA
	v_mfma_f32_16x16x32_fp8_fp8 v[12:15], a[188:189], a[108:109], v[12:15]// 000000008108: D3F3000C 1C32D9BC
	v_mfma_f32_16x16x32_fp8_fp8 v[12:15], a[190:191], a[110:111], v[12:15]// 000000008110: D3F3000C 1C32DDBE
	v_fma_f32 v176, v8, v4, v176                               // 000000008118: D1CB00B0 06C20908
	v_fma_f32 v177, v9, v4, v177                               // 000000008120: D1CB00B1 06C60909
	v_fma_f32 v178, v10, v4, v178                              // 000000008128: D1CB00B2 06CA090A
	v_fma_f32 v179, v11, v4, v179                              // 000000008130: D1CB00B3 06CE090B
	v_mul_f32_dpp v6, v29, v62 row_newbcast:0 row_mask:0xf bank_mask:0xf// 000000008138: 0A0C7CFA FF01501D
	v_mfma_f32_16x16x32_fp8_fp8 v[8:11], a[176:177], a[112:113], 0// 000000008140: D3F30008 1A02E1B0
	v_mfma_f32_16x16x32_fp8_fp8 v[8:11], a[178:179], a[114:115], v[8:11]// 000000008148: D3F30008 1C22E5B2
	v_mfma_f32_16x16x32_fp8_fp8 v[8:11], a[180:181], a[116:117], v[8:11]// 000000008150: D3F30008 1C22E9B4
	v_mfma_f32_16x16x32_fp8_fp8 v[8:11], a[182:183], a[118:119], v[8:11]// 000000008158: D3F30008 1C22EDB6
	v_fma_f32 v212, v12, v4, v212                              // 000000008160: D1CB00D4 0752090C
	v_fma_f32 v213, v13, v4, v213                              // 000000008168: D1CB00D5 0756090D
	v_fma_f32 v214, v14, v4, v214                              // 000000008170: D1CB00D6 075A090E
	v_fma_f32 v215, v15, v4, v215                              // 000000008178: D1CB00D7 075E090F
	v_mfma_f32_16x16x32_fp8_fp8 v[12:15], a[184:185], a[112:113], 0// 000000008180: D3F3000C 1A02E1B8
	v_mfma_f32_16x16x32_fp8_fp8 v[12:15], a[186:187], a[114:115], v[12:15]// 000000008188: D3F3000C 1C32E5BA
	v_mfma_f32_16x16x32_fp8_fp8 v[12:15], a[188:189], a[116:117], v[12:15]// 000000008190: D3F3000C 1C32E9BC
	v_mfma_f32_16x16x32_fp8_fp8 v[12:15], a[190:191], a[118:119], v[12:15]// 000000008198: D3F3000C 1C32EDBE
	v_fma_f32 v180, v8, v6, v180                               // 0000000081A0: D1CB00B4 06D20D08
	v_fma_f32 v181, v9, v6, v181                               // 0000000081A8: D1CB00B5 06D60D09
	v_fma_f32 v182, v10, v6, v182                              // 0000000081B0: D1CB00B6 06DA0D0A
	v_fma_f32 v183, v11, v6, v183                              // 0000000081B8: D1CB00B7 06DE0D0B
	v_mul_f32_dpp v4, v29, v63 row_newbcast:0 row_mask:0xf bank_mask:0xf// 0000000081C0: 0A087EFA FF01501D
	v_mfma_f32_16x16x32_fp8_fp8 v[8:11], a[176:177], a[120:121], 0// 0000000081C8: D3F30008 1A02F1B0
	v_mfma_f32_16x16x32_fp8_fp8 v[8:11], a[178:179], a[122:123], v[8:11]// 0000000081D0: D3F30008 1C22F5B2
	v_mfma_f32_16x16x32_fp8_fp8 v[8:11], a[180:181], a[124:125], v[8:11]// 0000000081D8: D3F30008 1C22F9B4
	v_mfma_f32_16x16x32_fp8_fp8 v[8:11], a[182:183], a[126:127], v[8:11]// 0000000081E0: D3F30008 1C22FDB6
	v_fma_f32 v216, v12, v6, v216                              // 0000000081E8: D1CB00D8 07620D0C
	v_fma_f32 v217, v13, v6, v217                              // 0000000081F0: D1CB00D9 07660D0D
	v_fma_f32 v218, v14, v6, v218                              // 0000000081F8: D1CB00DA 076A0D0E
	v_fma_f32 v219, v15, v6, v219                              // 000000008200: D1CB00DB 076E0D0F
	v_mfma_f32_16x16x32_fp8_fp8 v[12:15], a[184:185], a[120:121], 0// 000000008208: D3F3000C 1A02F1B8
	v_mfma_f32_16x16x32_fp8_fp8 v[12:15], a[186:187], a[122:123], v[12:15]// 000000008210: D3F3000C 1C32F5BA
	v_mfma_f32_16x16x32_fp8_fp8 v[12:15], a[188:189], a[124:125], v[12:15]// 000000008218: D3F3000C 1C32F9BC
	v_mfma_f32_16x16x32_fp8_fp8 v[12:15], a[190:191], a[126:127], v[12:15]// 000000008220: D3F3000C 1C32FDBE
	v_fma_f32 v184, v8, v4, v184                               // 000000008228: D1CB00B8 06E20908
	v_fma_f32 v185, v9, v4, v185                               // 000000008230: D1CB00B9 06E60909
	v_fma_f32 v186, v10, v4, v186                              // 000000008238: D1CB00BA 06EA090A
	v_fma_f32 v187, v11, v4, v187                              // 000000008240: D1CB00BB 06EE090B
	v_mul_f32_dpp v6, v29, v64 row_newbcast:0 row_mask:0xf bank_mask:0xf// 000000008248: 0A0C80FA FF01501D
	v_mfma_f32_16x16x32_fp8_fp8 v[8:11], a[176:177], a[128:129], 0// 000000008250: D3F30008 1A0301B0
	v_mfma_f32_16x16x32_fp8_fp8 v[8:11], a[178:179], a[130:131], v[8:11]// 000000008258: D3F30008 1C2305B2
	v_mfma_f32_16x16x32_fp8_fp8 v[8:11], a[180:181], a[132:133], v[8:11]// 000000008260: D3F30008 1C2309B4
	v_mfma_f32_16x16x32_fp8_fp8 v[8:11], a[182:183], a[134:135], v[8:11]// 000000008268: D3F30008 1C230DB6
	v_fma_f32 v220, v12, v4, v220                              // 000000008270: D1CB00DC 0772090C
	v_fma_f32 v221, v13, v4, v221                              // 000000008278: D1CB00DD 0776090D
	v_fma_f32 v222, v14, v4, v222                              // 000000008280: D1CB00DE 077A090E
	v_fma_f32 v223, v15, v4, v223                              // 000000008288: D1CB00DF 077E090F
	v_mfma_f32_16x16x32_fp8_fp8 v[12:15], a[184:185], a[128:129], 0// 000000008290: D3F3000C 1A0301B8
	v_mfma_f32_16x16x32_fp8_fp8 v[12:15], a[186:187], a[130:131], v[12:15]// 000000008298: D3F3000C 1C3305BA
	v_mfma_f32_16x16x32_fp8_fp8 v[12:15], a[188:189], a[132:133], v[12:15]// 0000000082A0: D3F3000C 1C3309BC
	v_mfma_f32_16x16x32_fp8_fp8 v[12:15], a[190:191], a[134:135], v[12:15]// 0000000082A8: D3F3000C 1C330DBE
	v_fma_f32 v188, v8, v6, v188                               // 0000000082B0: D1CB00BC 06F20D08
	v_fma_f32 v189, v9, v6, v189                               // 0000000082B8: D1CB00BD 06F60D09
	v_fma_f32 v190, v10, v6, v190                              // 0000000082C0: D1CB00BE 06FA0D0A
	v_fma_f32 v191, v11, v6, v191                              // 0000000082C8: D1CB00BF 06FE0D0B
	v_mul_f32_dpp v4, v29, v65 row_newbcast:0 row_mask:0xf bank_mask:0xf// 0000000082D0: 0A0882FA FF01501D
	v_mfma_f32_16x16x32_fp8_fp8 v[8:11], a[176:177], a[136:137], 0// 0000000082D8: D3F30008 1A0311B0
	s_add_u32 s60, 0x180, s80                                  // 0000000082E0: 803C50FF 00000180
	s_cmp_lt_u32 s60, s81                                      // 0000000082E8: BF0A513C
	s_cselect_b32 s57, s57, 0                                  // 0000000082EC: 85398039
	s_cselect_b32 s3, s3, 0                                    // 0000000082F0: 85038003
	v_mfma_f32_16x16x32_fp8_fp8 v[8:11], a[178:179], a[138:139], v[8:11]// 0000000082F4: D3F30008 1C2315B2
	s_add_u32 s60, 0x100, s80                                  // 0000000082FC: 803C50FF 00000100
	s_cmp_lt_u32 s60, s81                                      // 000000008304: BF0A513C
	s_cselect_b32 s58, s58, 0                                  // 000000008308: 853A803A
	v_mfma_f32_16x16x32_fp8_fp8 v[8:11], a[180:181], a[140:141], v[8:11]// 00000000830C: D3F30008 1C2319B4
	s_add_u32 s60, 0x100, s80                                  // 000000008314: 803C50FF 00000100
	s_cmp_lt_u32 s60, s81                                      // 00000000831C: BF0A513C
	s_cselect_b32 s83, s83, 0                                  // 000000008320: 85538053
	s_cselect_b32 s4, s4, 0                                    // 000000008324: 85048004
	v_mfma_f32_16x16x32_fp8_fp8 v[8:11], a[182:183], a[142:143], v[8:11]// 000000008328: D3F30008 1C231DB6
	s_add_u32 s24, s58, s24                                    // 000000008330: 8018183A
	s_addc_u32 s25, 0, s25                                     // 000000008334: 82191980
	v_fma_f32 v224, v12, v6, v224                              // 000000008338: D1CB00E0 07820D0C
	v_fma_f32 v225, v13, v6, v225                              // 000000008340: D1CB00E1 07860D0D
	v_fma_f32 v226, v14, v6, v226                              // 000000008348: D1CB00E2 078A0D0E
	v_fma_f32 v227, v15, v6, v227                              // 000000008350: D1CB00E3 078E0D0F
	v_mfma_f32_16x16x32_fp8_fp8 v[12:15], a[184:185], a[136:137], 0// 000000008358: D3F3000C 1A0311B8
	s_add_u32 s20, s57, s20                                    // 000000008360: 80141439
	s_addc_u32 s21, 0, s21                                     // 000000008364: 82151580
	s_add_u32 s28, s3, s28                                     // 000000008368: 801C1C03
	s_addc_u32 s29, 0, s29                                     // 00000000836C: 821D1D80
	v_mfma_f32_16x16x32_fp8_fp8 v[12:15], a[186:187], a[138:139], v[12:15]// 000000008370: D3F3000C 1C3315BA
	s_add_u32 s84, s83, s84                                    // 000000008378: 80545453
	s_addc_u32 s85, 0, s85                                     // 00000000837C: 82555580
	v_mfma_f32_16x16x32_fp8_fp8 v[12:15], a[188:189], a[140:141], v[12:15]// 000000008380: D3F3000C 1C3319BC
	s_add_u32 s32, s4, s32                                     // 000000008388: 80202004
	s_addc_u32 s33, 0, s33                                     // 00000000838C: 82212180
	v_mfma_f32_16x16x32_fp8_fp8 v[12:15], a[190:191], a[142:143], v[12:15]// 000000008390: D3F3000C 1C331DBE
	v_fma_f32 v192, v8, v4, v192                               // 000000008398: D1CB00C0 07020908
	v_fma_f32 v193, v9, v4, v193                               // 0000000083A0: D1CB00C1 07060909
	v_fma_f32 v194, v10, v4, v194                              // 0000000083A8: D1CB00C2 070A090A
	v_fma_f32 v195, v11, v4, v195                              // 0000000083B0: D1CB00C3 070E090B
	v_fma_f32 v228, v12, v4, v228                              // 0000000083B8: D1CB00E4 0792090C
	v_fma_f32 v229, v13, v4, v229                              // 0000000083C0: D1CB00E5 0796090D
	v_fma_f32 v230, v14, v4, v230                              // 0000000083C8: D1CB00E6 079A090E
	v_fma_f32 v231, v15, v4, v231                              // 0000000083D0: D1CB00E7 079E090F
	s_addk_i32 s80, 0x80                                       // 0000000083D8: B7500080
	s_cmp_lt_i32 s80, s81                                      // 0000000083DC: BF045150
	s_cbranch_scc0 label_167A                                  // 0000000083E0: BF840001
	s_branch label_0407                                        // 0000000083E4: BF82ED8D

00000000000083e8 <label_167A>:
	s_cmp_eq_u32 s88, 0                                        // 0000000083E8: BF068058
	s_cbranch_scc0 label_227C                                  // 0000000083EC: BF840C00
	s_cmp_eq_u32 s89, 0                                        // 0000000083F0: BF068059
	s_cbranch_scc1 label_1953                                  // 0000000083F4: BF8502D5
	v_mov_b32_e32 v8, v1                                       // 0000000083F8: 7E100301
	v_mov_b32_e32 v9, v1                                       // 0000000083FC: 7E120301
	s_mov_b32 s60, s6                                          // 000000008400: BEBC0006
	s_mov_b32 s61, s6                                          // 000000008404: BEBD0006
	v_pk_mul_f32 v[4:5], v[88:89], v[88:89]                    // 000000008408: D3B14004 1802B158
	v_pk_mul_f32 v[6:7], v[90:91], v[90:91]                    // 000000008410: D3B14006 1802B55A
	v_pk_fma_f32 v[4:5], v[4:5], s[78:79], v[8:9]              // 000000008418: D3B04004 1C209D04
	v_pk_fma_f32 v[6:7], v[6:7], s[78:79], v[8:9]              // 000000008420: D3B04006 1C209D06
	v_pk_mul_f32 v[4:5], v[4:5], v[88:89]                      // 000000008428: D3B14004 1802B104
	v_pk_mul_f32 v[6:7], v[6:7], v[90:91]                      // 000000008430: D3B14006 1802B506
	v_pk_mul_f32 v[4:5], v[4:5], s[60:61]                      // 000000008438: D3B14004 18007904
	v_pk_mul_f32 v[6:7], v[6:7], s[60:61]                      // 000000008440: D3B14006 18007906
	v_exp_f32_e32 v4, v4                                       // 000000008448: 7E084104
	v_exp_f32_e32 v5, v5                                       // 00000000844C: 7E0A4105
	v_exp_f32_e32 v6, v6                                       // 000000008450: 7E0C4106
	v_exp_f32_e32 v7, v7                                       // 000000008454: 7E0E4107
	v_add_f32_e64 v4, v4, 1.0                                  // 000000008458: D1010004 0001E504
	v_add_f32_e64 v5, v5, 1.0                                  // 000000008460: D1010005 0001E505
	v_add_f32_e64 v6, v6, 1.0                                  // 000000008468: D1010006 0001E506
	v_add_f32_e64 v7, v7, 1.0                                  // 000000008470: D1010007 0001E507
	v_rcp_f32_e32 v4, v4                                       // 000000008478: 7E084504
	v_rcp_f32_e32 v5, v5                                       // 00000000847C: 7E0A4505
	v_rcp_f32_e32 v6, v6                                       // 000000008480: 7E0C4506
	v_rcp_f32_e32 v7, v7                                       // 000000008484: 7E0E4507
	v_mul_f32_e32 v88, v88, v4                                 // 000000008488: 0AB00958
	v_mul_f32_e32 v89, v89, v5                                 // 00000000848C: 0AB20B59
	v_mul_f32_e32 v90, v90, v6                                 // 000000008490: 0AB40D5A
	v_mul_f32_e32 v91, v91, v7                                 // 000000008494: 0AB60F5B
	v_mul_f32_e32 v88, v88, v160                               // 000000008498: 0AB14158
	v_mul_f32_e32 v89, v89, v161                               // 00000000849C: 0AB34359
	v_mul_f32_e32 v90, v90, v162                               // 0000000084A0: 0AB5455A
	v_mul_f32_e32 v91, v91, v163                               // 0000000084A4: 0AB7475B
	v_pk_mul_f32 v[4:5], v[92:93], v[92:93]                    // 0000000084A8: D3B14004 1802B95C
	v_pk_mul_f32 v[6:7], v[94:95], v[94:95]                    // 0000000084B0: D3B14006 1802BD5E
	v_pk_fma_f32 v[4:5], v[4:5], s[78:79], v[8:9]              // 0000000084B8: D3B04004 1C209D04
	v_pk_fma_f32 v[6:7], v[6:7], s[78:79], v[8:9]              // 0000000084C0: D3B04006 1C209D06
	v_pk_mul_f32 v[4:5], v[4:5], v[92:93]                      // 0000000084C8: D3B14004 1802B904
	v_pk_mul_f32 v[6:7], v[6:7], v[94:95]                      // 0000000084D0: D3B14006 1802BD06
	v_pk_mul_f32 v[4:5], v[4:5], s[60:61]                      // 0000000084D8: D3B14004 18007904
	v_pk_mul_f32 v[6:7], v[6:7], s[60:61]                      // 0000000084E0: D3B14006 18007906
	v_exp_f32_e32 v4, v4                                       // 0000000084E8: 7E084104
	v_exp_f32_e32 v5, v5                                       // 0000000084EC: 7E0A4105
	v_exp_f32_e32 v6, v6                                       // 0000000084F0: 7E0C4106
	v_exp_f32_e32 v7, v7                                       // 0000000084F4: 7E0E4107
	v_add_f32_e64 v4, v4, 1.0                                  // 0000000084F8: D1010004 0001E504
	v_add_f32_e64 v5, v5, 1.0                                  // 000000008500: D1010005 0001E505
	v_add_f32_e64 v6, v6, 1.0                                  // 000000008508: D1010006 0001E506
	v_add_f32_e64 v7, v7, 1.0                                  // 000000008510: D1010007 0001E507
	v_rcp_f32_e32 v4, v4                                       // 000000008518: 7E084504
	v_rcp_f32_e32 v5, v5                                       // 00000000851C: 7E0A4505
	v_rcp_f32_e32 v6, v6                                       // 000000008520: 7E0C4506
	v_rcp_f32_e32 v7, v7                                       // 000000008524: 7E0E4507
	v_mul_f32_e32 v92, v92, v4                                 // 000000008528: 0AB8095C
	v_mul_f32_e32 v93, v93, v5                                 // 00000000852C: 0ABA0B5D
	v_mul_f32_e32 v94, v94, v6                                 // 000000008530: 0ABC0D5E
	v_mul_f32_e32 v95, v95, v7                                 // 000000008534: 0ABE0F5F
	v_mul_f32_e32 v92, v92, v164                               // 000000008538: 0AB9495C
	v_mul_f32_e32 v93, v93, v165                               // 00000000853C: 0ABB4B5D
	v_mul_f32_e32 v94, v94, v166                               // 000000008540: 0ABD4D5E
	v_mul_f32_e32 v95, v95, v167                               // 000000008544: 0ABF4F5F
	v_pk_mul_f32 v[4:5], v[96:97], v[96:97]                    // 000000008548: D3B14004 1802C160
	v_pk_mul_f32 v[6:7], v[98:99], v[98:99]                    // 000000008550: D3B14006 1802C562
	v_pk_fma_f32 v[4:5], v[4:5], s[78:79], v[8:9]              // 000000008558: D3B04004 1C209D04
	v_pk_fma_f32 v[6:7], v[6:7], s[78:79], v[8:9]              // 000000008560: D3B04006 1C209D06
	v_pk_mul_f32 v[4:5], v[4:5], v[96:97]                      // 000000008568: D3B14004 1802C104
	v_pk_mul_f32 v[6:7], v[6:7], v[98:99]                      // 000000008570: D3B14006 1802C506
	v_pk_mul_f32 v[4:5], v[4:5], s[60:61]                      // 000000008578: D3B14004 18007904
	v_pk_mul_f32 v[6:7], v[6:7], s[60:61]                      // 000000008580: D3B14006 18007906
	v_exp_f32_e32 v4, v4                                       // 000000008588: 7E084104
	v_exp_f32_e32 v5, v5                                       // 00000000858C: 7E0A4105
	v_exp_f32_e32 v6, v6                                       // 000000008590: 7E0C4106
	v_exp_f32_e32 v7, v7                                       // 000000008594: 7E0E4107
	v_add_f32_e64 v4, v4, 1.0                                  // 000000008598: D1010004 0001E504
	v_add_f32_e64 v5, v5, 1.0                                  // 0000000085A0: D1010005 0001E505
	v_add_f32_e64 v6, v6, 1.0                                  // 0000000085A8: D1010006 0001E506
	v_add_f32_e64 v7, v7, 1.0                                  // 0000000085B0: D1010007 0001E507
	v_rcp_f32_e32 v4, v4                                       // 0000000085B8: 7E084504
	v_rcp_f32_e32 v5, v5                                       // 0000000085BC: 7E0A4505
	v_rcp_f32_e32 v6, v6                                       // 0000000085C0: 7E0C4506
	v_rcp_f32_e32 v7, v7                                       // 0000000085C4: 7E0E4507
	v_mul_f32_e32 v96, v96, v4                                 // 0000000085C8: 0AC00960
	v_mul_f32_e32 v97, v97, v5                                 // 0000000085CC: 0AC20B61
	v_mul_f32_e32 v98, v98, v6                                 // 0000000085D0: 0AC40D62
	v_mul_f32_e32 v99, v99, v7                                 // 0000000085D4: 0AC60F63
	v_mul_f32_e32 v96, v96, v168                               // 0000000085D8: 0AC15160
	v_mul_f32_e32 v97, v97, v169                               // 0000000085DC: 0AC35361
	v_mul_f32_e32 v98, v98, v170                               // 0000000085E0: 0AC55562
	v_mul_f32_e32 v99, v99, v171                               // 0000000085E4: 0AC75763
	v_pk_mul_f32 v[4:5], v[100:101], v[100:101]                // 0000000085E8: D3B14004 1802C964
	v_pk_mul_f32 v[6:7], v[102:103], v[102:103]                // 0000000085F0: D3B14006 1802CD66
	v_pk_fma_f32 v[4:5], v[4:5], s[78:79], v[8:9]              // 0000000085F8: D3B04004 1C209D04
	v_pk_fma_f32 v[6:7], v[6:7], s[78:79], v[8:9]              // 000000008600: D3B04006 1C209D06
	v_pk_mul_f32 v[4:5], v[4:5], v[100:101]                    // 000000008608: D3B14004 1802C904
	v_pk_mul_f32 v[6:7], v[6:7], v[102:103]                    // 000000008610: D3B14006 1802CD06
	v_pk_mul_f32 v[4:5], v[4:5], s[60:61]                      // 000000008618: D3B14004 18007904
	v_pk_mul_f32 v[6:7], v[6:7], s[60:61]                      // 000000008620: D3B14006 18007906
	v_exp_f32_e32 v4, v4                                       // 000000008628: 7E084104
	v_exp_f32_e32 v5, v5                                       // 00000000862C: 7E0A4105
	v_exp_f32_e32 v6, v6                                       // 000000008630: 7E0C4106
	v_exp_f32_e32 v7, v7                                       // 000000008634: 7E0E4107
	v_add_f32_e64 v4, v4, 1.0                                  // 000000008638: D1010004 0001E504
	v_add_f32_e64 v5, v5, 1.0                                  // 000000008640: D1010005 0001E505
	v_add_f32_e64 v6, v6, 1.0                                  // 000000008648: D1010006 0001E506
	v_add_f32_e64 v7, v7, 1.0                                  // 000000008650: D1010007 0001E507
	v_rcp_f32_e32 v4, v4                                       // 000000008658: 7E084504
	v_rcp_f32_e32 v5, v5                                       // 00000000865C: 7E0A4505
	v_rcp_f32_e32 v6, v6                                       // 000000008660: 7E0C4506
	v_rcp_f32_e32 v7, v7                                       // 000000008664: 7E0E4507
	v_mul_f32_e32 v100, v100, v4                               // 000000008668: 0AC80964
	v_mul_f32_e32 v101, v101, v5                               // 00000000866C: 0ACA0B65
	v_mul_f32_e32 v102, v102, v6                               // 000000008670: 0ACC0D66
	v_mul_f32_e32 v103, v103, v7                               // 000000008674: 0ACE0F67
	v_mul_f32_e32 v100, v100, v172                             // 000000008678: 0AC95964
	v_mul_f32_e32 v101, v101, v173                             // 00000000867C: 0ACB5B65
	v_mul_f32_e32 v102, v102, v174                             // 000000008680: 0ACD5D66
	v_mul_f32_e32 v103, v103, v175                             // 000000008684: 0ACF5F67
	v_pk_mul_f32 v[4:5], v[104:105], v[104:105]                // 000000008688: D3B14004 1802D168
	v_pk_mul_f32 v[6:7], v[106:107], v[106:107]                // 000000008690: D3B14006 1802D56A
	v_pk_fma_f32 v[4:5], v[4:5], s[78:79], v[8:9]              // 000000008698: D3B04004 1C209D04
	v_pk_fma_f32 v[6:7], v[6:7], s[78:79], v[8:9]              // 0000000086A0: D3B04006 1C209D06
	v_pk_mul_f32 v[4:5], v[4:5], v[104:105]                    // 0000000086A8: D3B14004 1802D104
	v_pk_mul_f32 v[6:7], v[6:7], v[106:107]                    // 0000000086B0: D3B14006 1802D506
	v_pk_mul_f32 v[4:5], v[4:5], s[60:61]                      // 0000000086B8: D3B14004 18007904
	v_pk_mul_f32 v[6:7], v[6:7], s[60:61]                      // 0000000086C0: D3B14006 18007906
	v_exp_f32_e32 v4, v4                                       // 0000000086C8: 7E084104
	v_exp_f32_e32 v5, v5                                       // 0000000086CC: 7E0A4105
	v_exp_f32_e32 v6, v6                                       // 0000000086D0: 7E0C4106
	v_exp_f32_e32 v7, v7                                       // 0000000086D4: 7E0E4107
	v_add_f32_e64 v4, v4, 1.0                                  // 0000000086D8: D1010004 0001E504
	v_add_f32_e64 v5, v5, 1.0                                  // 0000000086E0: D1010005 0001E505
	v_add_f32_e64 v6, v6, 1.0                                  // 0000000086E8: D1010006 0001E506
	v_add_f32_e64 v7, v7, 1.0                                  // 0000000086F0: D1010007 0001E507
	v_rcp_f32_e32 v4, v4                                       // 0000000086F8: 7E084504
	v_rcp_f32_e32 v5, v5                                       // 0000000086FC: 7E0A4505
	v_rcp_f32_e32 v6, v6                                       // 000000008700: 7E0C4506
	v_rcp_f32_e32 v7, v7                                       // 000000008704: 7E0E4507
	v_mul_f32_e32 v104, v104, v4                               // 000000008708: 0AD00968
	v_mul_f32_e32 v105, v105, v5                               // 00000000870C: 0AD20B69
	v_mul_f32_e32 v106, v106, v6                               // 000000008710: 0AD40D6A
	v_mul_f32_e32 v107, v107, v7                               // 000000008714: 0AD60F6B
	v_mul_f32_e32 v104, v104, v176                             // 000000008718: 0AD16168
	v_mul_f32_e32 v105, v105, v177                             // 00000000871C: 0AD36369
	v_mul_f32_e32 v106, v106, v178                             // 000000008720: 0AD5656A
	v_mul_f32_e32 v107, v107, v179                             // 000000008724: 0AD7676B
	v_pk_mul_f32 v[4:5], v[108:109], v[108:109]                // 000000008728: D3B14004 1802D96C
	v_pk_mul_f32 v[6:7], v[110:111], v[110:111]                // 000000008730: D3B14006 1802DD6E
	v_pk_fma_f32 v[4:5], v[4:5], s[78:79], v[8:9]              // 000000008738: D3B04004 1C209D04
	v_pk_fma_f32 v[6:7], v[6:7], s[78:79], v[8:9]              // 000000008740: D3B04006 1C209D06
	v_pk_mul_f32 v[4:5], v[4:5], v[108:109]                    // 000000008748: D3B14004 1802D904
	v_pk_mul_f32 v[6:7], v[6:7], v[110:111]                    // 000000008750: D3B14006 1802DD06
	v_pk_mul_f32 v[4:5], v[4:5], s[60:61]                      // 000000008758: D3B14004 18007904
	v_pk_mul_f32 v[6:7], v[6:7], s[60:61]                      // 000000008760: D3B14006 18007906
	v_exp_f32_e32 v4, v4                                       // 000000008768: 7E084104
	v_exp_f32_e32 v5, v5                                       // 00000000876C: 7E0A4105
	v_exp_f32_e32 v6, v6                                       // 000000008770: 7E0C4106
	v_exp_f32_e32 v7, v7                                       // 000000008774: 7E0E4107
	v_add_f32_e64 v4, v4, 1.0                                  // 000000008778: D1010004 0001E504
	v_add_f32_e64 v5, v5, 1.0                                  // 000000008780: D1010005 0001E505
	v_add_f32_e64 v6, v6, 1.0                                  // 000000008788: D1010006 0001E506
	v_add_f32_e64 v7, v7, 1.0                                  // 000000008790: D1010007 0001E507
	v_rcp_f32_e32 v4, v4                                       // 000000008798: 7E084504
	v_rcp_f32_e32 v5, v5                                       // 00000000879C: 7E0A4505
	v_rcp_f32_e32 v6, v6                                       // 0000000087A0: 7E0C4506
	v_rcp_f32_e32 v7, v7                                       // 0000000087A4: 7E0E4507
	v_mul_f32_e32 v108, v108, v4                               // 0000000087A8: 0AD8096C
	v_mul_f32_e32 v109, v109, v5                               // 0000000087AC: 0ADA0B6D
	v_mul_f32_e32 v110, v110, v6                               // 0000000087B0: 0ADC0D6E
	v_mul_f32_e32 v111, v111, v7                               // 0000000087B4: 0ADE0F6F
	v_mul_f32_e32 v108, v108, v180                             // 0000000087B8: 0AD9696C
	v_mul_f32_e32 v109, v109, v181                             // 0000000087BC: 0ADB6B6D
	v_mul_f32_e32 v110, v110, v182                             // 0000000087C0: 0ADD6D6E
	v_mul_f32_e32 v111, v111, v183                             // 0000000087C4: 0ADF6F6F
	v_pk_mul_f32 v[4:5], v[112:113], v[112:113]                // 0000000087C8: D3B14004 1802E170
	v_pk_mul_f32 v[6:7], v[114:115], v[114:115]                // 0000000087D0: D3B14006 1802E572
	v_pk_fma_f32 v[4:5], v[4:5], s[78:79], v[8:9]              // 0000000087D8: D3B04004 1C209D04
	v_pk_fma_f32 v[6:7], v[6:7], s[78:79], v[8:9]              // 0000000087E0: D3B04006 1C209D06
	v_pk_mul_f32 v[4:5], v[4:5], v[112:113]                    // 0000000087E8: D3B14004 1802E104
	v_pk_mul_f32 v[6:7], v[6:7], v[114:115]                    // 0000000087F0: D3B14006 1802E506
	v_pk_mul_f32 v[4:5], v[4:5], s[60:61]                      // 0000000087F8: D3B14004 18007904
	v_pk_mul_f32 v[6:7], v[6:7], s[60:61]                      // 000000008800: D3B14006 18007906
	v_exp_f32_e32 v4, v4                                       // 000000008808: 7E084104
	v_exp_f32_e32 v5, v5                                       // 00000000880C: 7E0A4105
	v_exp_f32_e32 v6, v6                                       // 000000008810: 7E0C4106
	v_exp_f32_e32 v7, v7                                       // 000000008814: 7E0E4107
	v_add_f32_e64 v4, v4, 1.0                                  // 000000008818: D1010004 0001E504
	v_add_f32_e64 v5, v5, 1.0                                  // 000000008820: D1010005 0001E505
	v_add_f32_e64 v6, v6, 1.0                                  // 000000008828: D1010006 0001E506
	v_add_f32_e64 v7, v7, 1.0                                  // 000000008830: D1010007 0001E507
	v_rcp_f32_e32 v4, v4                                       // 000000008838: 7E084504
	v_rcp_f32_e32 v5, v5                                       // 00000000883C: 7E0A4505
	v_rcp_f32_e32 v6, v6                                       // 000000008840: 7E0C4506
	v_rcp_f32_e32 v7, v7                                       // 000000008844: 7E0E4507
	v_mul_f32_e32 v112, v112, v4                               // 000000008848: 0AE00970
	v_mul_f32_e32 v113, v113, v5                               // 00000000884C: 0AE20B71
	v_mul_f32_e32 v114, v114, v6                               // 000000008850: 0AE40D72
	v_mul_f32_e32 v115, v115, v7                               // 000000008854: 0AE60F73
	v_mul_f32_e32 v112, v112, v184                             // 000000008858: 0AE17170
	v_mul_f32_e32 v113, v113, v185                             // 00000000885C: 0AE37371
	v_mul_f32_e32 v114, v114, v186                             // 000000008860: 0AE57572
	v_mul_f32_e32 v115, v115, v187                             // 000000008864: 0AE77773
	v_pk_mul_f32 v[4:5], v[116:117], v[116:117]                // 000000008868: D3B14004 1802E974
	v_pk_mul_f32 v[6:7], v[118:119], v[118:119]                // 000000008870: D3B14006 1802ED76
	v_pk_fma_f32 v[4:5], v[4:5], s[78:79], v[8:9]              // 000000008878: D3B04004 1C209D04
	v_pk_fma_f32 v[6:7], v[6:7], s[78:79], v[8:9]              // 000000008880: D3B04006 1C209D06
	v_pk_mul_f32 v[4:5], v[4:5], v[116:117]                    // 000000008888: D3B14004 1802E904
	v_pk_mul_f32 v[6:7], v[6:7], v[118:119]                    // 000000008890: D3B14006 1802ED06
	v_pk_mul_f32 v[4:5], v[4:5], s[60:61]                      // 000000008898: D3B14004 18007904
	v_pk_mul_f32 v[6:7], v[6:7], s[60:61]                      // 0000000088A0: D3B14006 18007906
	v_exp_f32_e32 v4, v4                                       // 0000000088A8: 7E084104
	v_exp_f32_e32 v5, v5                                       // 0000000088AC: 7E0A4105
	v_exp_f32_e32 v6, v6                                       // 0000000088B0: 7E0C4106
	v_exp_f32_e32 v7, v7                                       // 0000000088B4: 7E0E4107
	v_add_f32_e64 v4, v4, 1.0                                  // 0000000088B8: D1010004 0001E504
	v_add_f32_e64 v5, v5, 1.0                                  // 0000000088C0: D1010005 0001E505
	v_add_f32_e64 v6, v6, 1.0                                  // 0000000088C8: D1010006 0001E506
	v_add_f32_e64 v7, v7, 1.0                                  // 0000000088D0: D1010007 0001E507
	v_rcp_f32_e32 v4, v4                                       // 0000000088D8: 7E084504
	v_rcp_f32_e32 v5, v5                                       // 0000000088DC: 7E0A4505
	v_rcp_f32_e32 v6, v6                                       // 0000000088E0: 7E0C4506
	v_rcp_f32_e32 v7, v7                                       // 0000000088E4: 7E0E4507
	v_mul_f32_e32 v116, v116, v4                               // 0000000088E8: 0AE80974
	v_mul_f32_e32 v117, v117, v5                               // 0000000088EC: 0AEA0B75
	v_mul_f32_e32 v118, v118, v6                               // 0000000088F0: 0AEC0D76
	v_mul_f32_e32 v119, v119, v7                               // 0000000088F4: 0AEE0F77
	v_mul_f32_e32 v116, v116, v188                             // 0000000088F8: 0AE97974
	v_mul_f32_e32 v117, v117, v189                             // 0000000088FC: 0AEB7B75
	v_mul_f32_e32 v118, v118, v190                             // 000000008900: 0AED7D76
	v_mul_f32_e32 v119, v119, v191                             // 000000008904: 0AEF7F77
	v_pk_mul_f32 v[4:5], v[120:121], v[120:121]                // 000000008908: D3B14004 1802F178
	v_pk_mul_f32 v[6:7], v[122:123], v[122:123]                // 000000008910: D3B14006 1802F57A
	v_pk_fma_f32 v[4:5], v[4:5], s[78:79], v[8:9]              // 000000008918: D3B04004 1C209D04
	v_pk_fma_f32 v[6:7], v[6:7], s[78:79], v[8:9]              // 000000008920: D3B04006 1C209D06
	v_pk_mul_f32 v[4:5], v[4:5], v[120:121]                    // 000000008928: D3B14004 1802F104
	v_pk_mul_f32 v[6:7], v[6:7], v[122:123]                    // 000000008930: D3B14006 1802F506
	v_pk_mul_f32 v[4:5], v[4:5], s[60:61]                      // 000000008938: D3B14004 18007904
	v_pk_mul_f32 v[6:7], v[6:7], s[60:61]                      // 000000008940: D3B14006 18007906
	v_exp_f32_e32 v4, v4                                       // 000000008948: 7E084104
	v_exp_f32_e32 v5, v5                                       // 00000000894C: 7E0A4105
	v_exp_f32_e32 v6, v6                                       // 000000008950: 7E0C4106
	v_exp_f32_e32 v7, v7                                       // 000000008954: 7E0E4107
	v_add_f32_e64 v4, v4, 1.0                                  // 000000008958: D1010004 0001E504
	v_add_f32_e64 v5, v5, 1.0                                  // 000000008960: D1010005 0001E505
	v_add_f32_e64 v6, v6, 1.0                                  // 000000008968: D1010006 0001E506
	v_add_f32_e64 v7, v7, 1.0                                  // 000000008970: D1010007 0001E507
	v_rcp_f32_e32 v4, v4                                       // 000000008978: 7E084504
	v_rcp_f32_e32 v5, v5                                       // 00000000897C: 7E0A4505
	v_rcp_f32_e32 v6, v6                                       // 000000008980: 7E0C4506
	v_rcp_f32_e32 v7, v7                                       // 000000008984: 7E0E4507
	v_mul_f32_e32 v120, v120, v4                               // 000000008988: 0AF00978
	v_mul_f32_e32 v121, v121, v5                               // 00000000898C: 0AF20B79
	v_mul_f32_e32 v122, v122, v6                               // 000000008990: 0AF40D7A
	v_mul_f32_e32 v123, v123, v7                               // 000000008994: 0AF60F7B
	v_mul_f32_e32 v120, v120, v192                             // 000000008998: 0AF18178
	v_mul_f32_e32 v121, v121, v193                             // 00000000899C: 0AF38379
	v_mul_f32_e32 v122, v122, v194                             // 0000000089A0: 0AF5857A
	v_mul_f32_e32 v123, v123, v195                             // 0000000089A4: 0AF7877B
	v_pk_mul_f32 v[4:5], v[124:125], v[124:125]                // 0000000089A8: D3B14004 1802F97C
	v_pk_mul_f32 v[6:7], v[126:127], v[126:127]                // 0000000089B0: D3B14006 1802FD7E
	v_pk_fma_f32 v[4:5], v[4:5], s[78:79], v[8:9]              // 0000000089B8: D3B04004 1C209D04
	v_pk_fma_f32 v[6:7], v[6:7], s[78:79], v[8:9]              // 0000000089C0: D3B04006 1C209D06
	v_pk_mul_f32 v[4:5], v[4:5], v[124:125]                    // 0000000089C8: D3B14004 1802F904
	v_pk_mul_f32 v[6:7], v[6:7], v[126:127]                    // 0000000089D0: D3B14006 1802FD06
	v_pk_mul_f32 v[4:5], v[4:5], s[60:61]                      // 0000000089D8: D3B14004 18007904
	v_pk_mul_f32 v[6:7], v[6:7], s[60:61]                      // 0000000089E0: D3B14006 18007906
	v_exp_f32_e32 v4, v4                                       // 0000000089E8: 7E084104
	v_exp_f32_e32 v5, v5                                       // 0000000089EC: 7E0A4105
	v_exp_f32_e32 v6, v6                                       // 0000000089F0: 7E0C4106
	v_exp_f32_e32 v7, v7                                       // 0000000089F4: 7E0E4107
	v_add_f32_e64 v4, v4, 1.0                                  // 0000000089F8: D1010004 0001E504
	v_add_f32_e64 v5, v5, 1.0                                  // 000000008A00: D1010005 0001E505
	v_add_f32_e64 v6, v6, 1.0                                  // 000000008A08: D1010006 0001E506
	v_add_f32_e64 v7, v7, 1.0                                  // 000000008A10: D1010007 0001E507
	v_rcp_f32_e32 v4, v4                                       // 000000008A18: 7E084504
	v_rcp_f32_e32 v5, v5                                       // 000000008A1C: 7E0A4505
	v_rcp_f32_e32 v6, v6                                       // 000000008A20: 7E0C4506
	v_rcp_f32_e32 v7, v7                                       // 000000008A24: 7E0E4507
	v_mul_f32_e32 v124, v124, v4                               // 000000008A28: 0AF8097C
	v_mul_f32_e32 v125, v125, v5                               // 000000008A2C: 0AFA0B7D
	v_mul_f32_e32 v126, v126, v6                               // 000000008A30: 0AFC0D7E
	v_mul_f32_e32 v127, v127, v7                               // 000000008A34: 0AFE0F7F
	v_mul_f32_e32 v124, v124, v196                             // 000000008A38: 0AF9897C
	v_mul_f32_e32 v125, v125, v197                             // 000000008A3C: 0AFB8B7D
	v_mul_f32_e32 v126, v126, v198                             // 000000008A40: 0AFD8D7E
	v_mul_f32_e32 v127, v127, v199                             // 000000008A44: 0AFF8F7F
	v_pk_mul_f32 v[4:5], v[128:129], v[128:129]                // 000000008A48: D3B14004 18030180
	v_pk_mul_f32 v[6:7], v[130:131], v[130:131]                // 000000008A50: D3B14006 18030582
	v_pk_fma_f32 v[4:5], v[4:5], s[78:79], v[8:9]              // 000000008A58: D3B04004 1C209D04
	v_pk_fma_f32 v[6:7], v[6:7], s[78:79], v[8:9]              // 000000008A60: D3B04006 1C209D06
	v_pk_mul_f32 v[4:5], v[4:5], v[128:129]                    // 000000008A68: D3B14004 18030104
	v_pk_mul_f32 v[6:7], v[6:7], v[130:131]                    // 000000008A70: D3B14006 18030506
	v_pk_mul_f32 v[4:5], v[4:5], s[60:61]                      // 000000008A78: D3B14004 18007904
	v_pk_mul_f32 v[6:7], v[6:7], s[60:61]                      // 000000008A80: D3B14006 18007906
	v_exp_f32_e32 v4, v4                                       // 000000008A88: 7E084104
	v_exp_f32_e32 v5, v5                                       // 000000008A8C: 7E0A4105
	v_exp_f32_e32 v6, v6                                       // 000000008A90: 7E0C4106
	v_exp_f32_e32 v7, v7                                       // 000000008A94: 7E0E4107
	v_add_f32_e64 v4, v4, 1.0                                  // 000000008A98: D1010004 0001E504
	v_add_f32_e64 v5, v5, 1.0                                  // 000000008AA0: D1010005 0001E505
	v_add_f32_e64 v6, v6, 1.0                                  // 000000008AA8: D1010006 0001E506
	v_add_f32_e64 v7, v7, 1.0                                  // 000000008AB0: D1010007 0001E507
	v_rcp_f32_e32 v4, v4                                       // 000000008AB8: 7E084504
	v_rcp_f32_e32 v5, v5                                       // 000000008ABC: 7E0A4505
	v_rcp_f32_e32 v6, v6                                       // 000000008AC0: 7E0C4506
	v_rcp_f32_e32 v7, v7                                       // 000000008AC4: 7E0E4507
	v_mul_f32_e32 v128, v128, v4                               // 000000008AC8: 0B000980
	v_mul_f32_e32 v129, v129, v5                               // 000000008ACC: 0B020B81
	v_mul_f32_e32 v130, v130, v6                               // 000000008AD0: 0B040D82
	v_mul_f32_e32 v131, v131, v7                               // 000000008AD4: 0B060F83
	v_mul_f32_e32 v128, v128, v200                             // 000000008AD8: 0B019180
	v_mul_f32_e32 v129, v129, v201                             // 000000008ADC: 0B039381
	v_mul_f32_e32 v130, v130, v202                             // 000000008AE0: 0B059582
	v_mul_f32_e32 v131, v131, v203                             // 000000008AE4: 0B079783
	v_pk_mul_f32 v[4:5], v[132:133], v[132:133]                // 000000008AE8: D3B14004 18030984
	v_pk_mul_f32 v[6:7], v[134:135], v[134:135]                // 000000008AF0: D3B14006 18030D86
	v_pk_fma_f32 v[4:5], v[4:5], s[78:79], v[8:9]              // 000000008AF8: D3B04004 1C209D04
	v_pk_fma_f32 v[6:7], v[6:7], s[78:79], v[8:9]              // 000000008B00: D3B04006 1C209D06
	v_pk_mul_f32 v[4:5], v[4:5], v[132:133]                    // 000000008B08: D3B14004 18030904
	v_pk_mul_f32 v[6:7], v[6:7], v[134:135]                    // 000000008B10: D3B14006 18030D06
	v_pk_mul_f32 v[4:5], v[4:5], s[60:61]                      // 000000008B18: D3B14004 18007904
	v_pk_mul_f32 v[6:7], v[6:7], s[60:61]                      // 000000008B20: D3B14006 18007906
	v_exp_f32_e32 v4, v4                                       // 000000008B28: 7E084104
	v_exp_f32_e32 v5, v5                                       // 000000008B2C: 7E0A4105
	v_exp_f32_e32 v6, v6                                       // 000000008B30: 7E0C4106
	v_exp_f32_e32 v7, v7                                       // 000000008B34: 7E0E4107
	v_add_f32_e64 v4, v4, 1.0                                  // 000000008B38: D1010004 0001E504
	v_add_f32_e64 v5, v5, 1.0                                  // 000000008B40: D1010005 0001E505
	v_add_f32_e64 v6, v6, 1.0                                  // 000000008B48: D1010006 0001E506
	v_add_f32_e64 v7, v7, 1.0                                  // 000000008B50: D1010007 0001E507
	v_rcp_f32_e32 v4, v4                                       // 000000008B58: 7E084504
	v_rcp_f32_e32 v5, v5                                       // 000000008B5C: 7E0A4505
	v_rcp_f32_e32 v6, v6                                       // 000000008B60: 7E0C4506
	v_rcp_f32_e32 v7, v7                                       // 000000008B64: 7E0E4507
	v_mul_f32_e32 v132, v132, v4                               // 000000008B68: 0B080984
	v_mul_f32_e32 v133, v133, v5                               // 000000008B6C: 0B0A0B85
	v_mul_f32_e32 v134, v134, v6                               // 000000008B70: 0B0C0D86
	v_mul_f32_e32 v135, v135, v7                               // 000000008B74: 0B0E0F87
	v_mul_f32_e32 v132, v132, v204                             // 000000008B78: 0B099984
	v_mul_f32_e32 v133, v133, v205                             // 000000008B7C: 0B0B9B85
	v_mul_f32_e32 v134, v134, v206                             // 000000008B80: 0B0D9D86
	v_mul_f32_e32 v135, v135, v207                             // 000000008B84: 0B0F9F87
	v_pk_mul_f32 v[4:5], v[136:137], v[136:137]                // 000000008B88: D3B14004 18031188
	v_pk_mul_f32 v[6:7], v[138:139], v[138:139]                // 000000008B90: D3B14006 1803158A
	v_pk_fma_f32 v[4:5], v[4:5], s[78:79], v[8:9]              // 000000008B98: D3B04004 1C209D04
	v_pk_fma_f32 v[6:7], v[6:7], s[78:79], v[8:9]              // 000000008BA0: D3B04006 1C209D06
	v_pk_mul_f32 v[4:5], v[4:5], v[136:137]                    // 000000008BA8: D3B14004 18031104
	v_pk_mul_f32 v[6:7], v[6:7], v[138:139]                    // 000000008BB0: D3B14006 18031506
	v_pk_mul_f32 v[4:5], v[4:5], s[60:61]                      // 000000008BB8: D3B14004 18007904
	v_pk_mul_f32 v[6:7], v[6:7], s[60:61]                      // 000000008BC0: D3B14006 18007906
	v_exp_f32_e32 v4, v4                                       // 000000008BC8: 7E084104
	v_exp_f32_e32 v5, v5                                       // 000000008BCC: 7E0A4105
	v_exp_f32_e32 v6, v6                                       // 000000008BD0: 7E0C4106
	v_exp_f32_e32 v7, v7                                       // 000000008BD4: 7E0E4107
	v_add_f32_e64 v4, v4, 1.0                                  // 000000008BD8: D1010004 0001E504
	v_add_f32_e64 v5, v5, 1.0                                  // 000000008BE0: D1010005 0001E505
	v_add_f32_e64 v6, v6, 1.0                                  // 000000008BE8: D1010006 0001E506
	v_add_f32_e64 v7, v7, 1.0                                  // 000000008BF0: D1010007 0001E507
	v_rcp_f32_e32 v4, v4                                       // 000000008BF8: 7E084504
	v_rcp_f32_e32 v5, v5                                       // 000000008BFC: 7E0A4505
	v_rcp_f32_e32 v6, v6                                       // 000000008C00: 7E0C4506
	v_rcp_f32_e32 v7, v7                                       // 000000008C04: 7E0E4507
	v_mul_f32_e32 v136, v136, v4                               // 000000008C08: 0B100988
	v_mul_f32_e32 v137, v137, v5                               // 000000008C0C: 0B120B89
	v_mul_f32_e32 v138, v138, v6                               // 000000008C10: 0B140D8A
	v_mul_f32_e32 v139, v139, v7                               // 000000008C14: 0B160F8B
	v_mul_f32_e32 v136, v136, v208                             // 000000008C18: 0B11A188
	v_mul_f32_e32 v137, v137, v209                             // 000000008C1C: 0B13A389
	v_mul_f32_e32 v138, v138, v210                             // 000000008C20: 0B15A58A
	v_mul_f32_e32 v139, v139, v211                             // 000000008C24: 0B17A78B
	v_pk_mul_f32 v[4:5], v[140:141], v[140:141]                // 000000008C28: D3B14004 1803198C
	v_pk_mul_f32 v[6:7], v[142:143], v[142:143]                // 000000008C30: D3B14006 18031D8E
	v_pk_fma_f32 v[4:5], v[4:5], s[78:79], v[8:9]              // 000000008C38: D3B04004 1C209D04
	v_pk_fma_f32 v[6:7], v[6:7], s[78:79], v[8:9]              // 000000008C40: D3B04006 1C209D06
	v_pk_mul_f32 v[4:5], v[4:5], v[140:141]                    // 000000008C48: D3B14004 18031904
	v_pk_mul_f32 v[6:7], v[6:7], v[142:143]                    // 000000008C50: D3B14006 18031D06
	v_pk_mul_f32 v[4:5], v[4:5], s[60:61]                      // 000000008C58: D3B14004 18007904
	v_pk_mul_f32 v[6:7], v[6:7], s[60:61]                      // 000000008C60: D3B14006 18007906
	v_exp_f32_e32 v4, v4                                       // 000000008C68: 7E084104
	v_exp_f32_e32 v5, v5                                       // 000000008C6C: 7E0A4105
	v_exp_f32_e32 v6, v6                                       // 000000008C70: 7E0C4106
	v_exp_f32_e32 v7, v7                                       // 000000008C74: 7E0E4107
	v_add_f32_e64 v4, v4, 1.0                                  // 000000008C78: D1010004 0001E504
	v_add_f32_e64 v5, v5, 1.0                                  // 000000008C80: D1010005 0001E505
	v_add_f32_e64 v6, v6, 1.0                                  // 000000008C88: D1010006 0001E506
	v_add_f32_e64 v7, v7, 1.0                                  // 000000008C90: D1010007 0001E507
	v_rcp_f32_e32 v4, v4                                       // 000000008C98: 7E084504
	v_rcp_f32_e32 v5, v5                                       // 000000008C9C: 7E0A4505
	v_rcp_f32_e32 v6, v6                                       // 000000008CA0: 7E0C4506
	v_rcp_f32_e32 v7, v7                                       // 000000008CA4: 7E0E4507
	v_mul_f32_e32 v140, v140, v4                               // 000000008CA8: 0B18098C
	v_mul_f32_e32 v141, v141, v5                               // 000000008CAC: 0B1A0B8D
	v_mul_f32_e32 v142, v142, v6                               // 000000008CB0: 0B1C0D8E
	v_mul_f32_e32 v143, v143, v7                               // 000000008CB4: 0B1E0F8F
	v_mul_f32_e32 v140, v140, v212                             // 000000008CB8: 0B19A98C
	v_mul_f32_e32 v141, v141, v213                             // 000000008CBC: 0B1BAB8D
	v_mul_f32_e32 v142, v142, v214                             // 000000008CC0: 0B1DAD8E
	v_mul_f32_e32 v143, v143, v215                             // 000000008CC4: 0B1FAF8F
	v_pk_mul_f32 v[4:5], v[144:145], v[144:145]                // 000000008CC8: D3B14004 18032190
	v_pk_mul_f32 v[6:7], v[146:147], v[146:147]                // 000000008CD0: D3B14006 18032592
	v_pk_fma_f32 v[4:5], v[4:5], s[78:79], v[8:9]              // 000000008CD8: D3B04004 1C209D04
	v_pk_fma_f32 v[6:7], v[6:7], s[78:79], v[8:9]              // 000000008CE0: D3B04006 1C209D06
	v_pk_mul_f32 v[4:5], v[4:5], v[144:145]                    // 000000008CE8: D3B14004 18032104
	v_pk_mul_f32 v[6:7], v[6:7], v[146:147]                    // 000000008CF0: D3B14006 18032506
	v_pk_mul_f32 v[4:5], v[4:5], s[60:61]                      // 000000008CF8: D3B14004 18007904
	v_pk_mul_f32 v[6:7], v[6:7], s[60:61]                      // 000000008D00: D3B14006 18007906
	v_exp_f32_e32 v4, v4                                       // 000000008D08: 7E084104
	v_exp_f32_e32 v5, v5                                       // 000000008D0C: 7E0A4105
	v_exp_f32_e32 v6, v6                                       // 000000008D10: 7E0C4106
	v_exp_f32_e32 v7, v7                                       // 000000008D14: 7E0E4107
	v_add_f32_e64 v4, v4, 1.0                                  // 000000008D18: D1010004 0001E504
	v_add_f32_e64 v5, v5, 1.0                                  // 000000008D20: D1010005 0001E505
	v_add_f32_e64 v6, v6, 1.0                                  // 000000008D28: D1010006 0001E506
	v_add_f32_e64 v7, v7, 1.0                                  // 000000008D30: D1010007 0001E507
	v_rcp_f32_e32 v4, v4                                       // 000000008D38: 7E084504
	v_rcp_f32_e32 v5, v5                                       // 000000008D3C: 7E0A4505
	v_rcp_f32_e32 v6, v6                                       // 000000008D40: 7E0C4506
	v_rcp_f32_e32 v7, v7                                       // 000000008D44: 7E0E4507
	v_mul_f32_e32 v144, v144, v4                               // 000000008D48: 0B200990
	v_mul_f32_e32 v145, v145, v5                               // 000000008D4C: 0B220B91
	v_mul_f32_e32 v146, v146, v6                               // 000000008D50: 0B240D92
	v_mul_f32_e32 v147, v147, v7                               // 000000008D54: 0B260F93
	v_mul_f32_e32 v144, v144, v216                             // 000000008D58: 0B21B190
	v_mul_f32_e32 v145, v145, v217                             // 000000008D5C: 0B23B391
	v_mul_f32_e32 v146, v146, v218                             // 000000008D60: 0B25B592
	v_mul_f32_e32 v147, v147, v219                             // 000000008D64: 0B27B793
	v_pk_mul_f32 v[4:5], v[148:149], v[148:149]                // 000000008D68: D3B14004 18032994
	v_pk_mul_f32 v[6:7], v[150:151], v[150:151]                // 000000008D70: D3B14006 18032D96
	v_pk_fma_f32 v[4:5], v[4:5], s[78:79], v[8:9]              // 000000008D78: D3B04004 1C209D04
	v_pk_fma_f32 v[6:7], v[6:7], s[78:79], v[8:9]              // 000000008D80: D3B04006 1C209D06
	v_pk_mul_f32 v[4:5], v[4:5], v[148:149]                    // 000000008D88: D3B14004 18032904
	v_pk_mul_f32 v[6:7], v[6:7], v[150:151]                    // 000000008D90: D3B14006 18032D06
	v_pk_mul_f32 v[4:5], v[4:5], s[60:61]                      // 000000008D98: D3B14004 18007904
	v_pk_mul_f32 v[6:7], v[6:7], s[60:61]                      // 000000008DA0: D3B14006 18007906
	v_exp_f32_e32 v4, v4                                       // 000000008DA8: 7E084104
	v_exp_f32_e32 v5, v5                                       // 000000008DAC: 7E0A4105
	v_exp_f32_e32 v6, v6                                       // 000000008DB0: 7E0C4106
	v_exp_f32_e32 v7, v7                                       // 000000008DB4: 7E0E4107
	v_add_f32_e64 v4, v4, 1.0                                  // 000000008DB8: D1010004 0001E504
	v_add_f32_e64 v5, v5, 1.0                                  // 000000008DC0: D1010005 0001E505
	v_add_f32_e64 v6, v6, 1.0                                  // 000000008DC8: D1010006 0001E506
	v_add_f32_e64 v7, v7, 1.0                                  // 000000008DD0: D1010007 0001E507
	v_rcp_f32_e32 v4, v4                                       // 000000008DD8: 7E084504
	v_rcp_f32_e32 v5, v5                                       // 000000008DDC: 7E0A4505
	v_rcp_f32_e32 v6, v6                                       // 000000008DE0: 7E0C4506
	v_rcp_f32_e32 v7, v7                                       // 000000008DE4: 7E0E4507
	v_mul_f32_e32 v148, v148, v4                               // 000000008DE8: 0B280994
	v_mul_f32_e32 v149, v149, v5                               // 000000008DEC: 0B2A0B95
	v_mul_f32_e32 v150, v150, v6                               // 000000008DF0: 0B2C0D96
	v_mul_f32_e32 v151, v151, v7                               // 000000008DF4: 0B2E0F97
	v_mul_f32_e32 v148, v148, v220                             // 000000008DF8: 0B29B994
	v_mul_f32_e32 v149, v149, v221                             // 000000008DFC: 0B2BBB95
	v_mul_f32_e32 v150, v150, v222                             // 000000008E00: 0B2DBD96
	v_mul_f32_e32 v151, v151, v223                             // 000000008E04: 0B2FBF97
	v_pk_mul_f32 v[4:5], v[152:153], v[152:153]                // 000000008E08: D3B14004 18033198
	v_pk_mul_f32 v[6:7], v[154:155], v[154:155]                // 000000008E10: D3B14006 1803359A
	v_pk_fma_f32 v[4:5], v[4:5], s[78:79], v[8:9]              // 000000008E18: D3B04004 1C209D04
	v_pk_fma_f32 v[6:7], v[6:7], s[78:79], v[8:9]              // 000000008E20: D3B04006 1C209D06
	v_pk_mul_f32 v[4:5], v[4:5], v[152:153]                    // 000000008E28: D3B14004 18033104
	v_pk_mul_f32 v[6:7], v[6:7], v[154:155]                    // 000000008E30: D3B14006 18033506
	v_pk_mul_f32 v[4:5], v[4:5], s[60:61]                      // 000000008E38: D3B14004 18007904
	v_pk_mul_f32 v[6:7], v[6:7], s[60:61]                      // 000000008E40: D3B14006 18007906
	v_exp_f32_e32 v4, v4                                       // 000000008E48: 7E084104
	v_exp_f32_e32 v5, v5                                       // 000000008E4C: 7E0A4105
	v_exp_f32_e32 v6, v6                                       // 000000008E50: 7E0C4106
	v_exp_f32_e32 v7, v7                                       // 000000008E54: 7E0E4107
	v_add_f32_e64 v4, v4, 1.0                                  // 000000008E58: D1010004 0001E504
	v_add_f32_e64 v5, v5, 1.0                                  // 000000008E60: D1010005 0001E505
	v_add_f32_e64 v6, v6, 1.0                                  // 000000008E68: D1010006 0001E506
	v_add_f32_e64 v7, v7, 1.0                                  // 000000008E70: D1010007 0001E507
	v_rcp_f32_e32 v4, v4                                       // 000000008E78: 7E084504
	v_rcp_f32_e32 v5, v5                                       // 000000008E7C: 7E0A4505
	v_rcp_f32_e32 v6, v6                                       // 000000008E80: 7E0C4506
	v_rcp_f32_e32 v7, v7                                       // 000000008E84: 7E0E4507
	v_mul_f32_e32 v152, v152, v4                               // 000000008E88: 0B300998
	v_mul_f32_e32 v153, v153, v5                               // 000000008E8C: 0B320B99
	v_mul_f32_e32 v154, v154, v6                               // 000000008E90: 0B340D9A
	v_mul_f32_e32 v155, v155, v7                               // 000000008E94: 0B360F9B
	v_mul_f32_e32 v152, v152, v224                             // 000000008E98: 0B31C198
	v_mul_f32_e32 v153, v153, v225                             // 000000008E9C: 0B33C399
	v_mul_f32_e32 v154, v154, v226                             // 000000008EA0: 0B35C59A
	v_mul_f32_e32 v155, v155, v227                             // 000000008EA4: 0B37C79B
	v_pk_mul_f32 v[4:5], v[156:157], v[156:157]                // 000000008EA8: D3B14004 1803399C
	v_pk_mul_f32 v[6:7], v[158:159], v[158:159]                // 000000008EB0: D3B14006 18033D9E
	v_pk_fma_f32 v[4:5], v[4:5], s[78:79], v[8:9]              // 000000008EB8: D3B04004 1C209D04
	v_pk_fma_f32 v[6:7], v[6:7], s[78:79], v[8:9]              // 000000008EC0: D3B04006 1C209D06
	v_pk_mul_f32 v[4:5], v[4:5], v[156:157]                    // 000000008EC8: D3B14004 18033904
	v_pk_mul_f32 v[6:7], v[6:7], v[158:159]                    // 000000008ED0: D3B14006 18033D06
	v_pk_mul_f32 v[4:5], v[4:5], s[60:61]                      // 000000008ED8: D3B14004 18007904
	v_pk_mul_f32 v[6:7], v[6:7], s[60:61]                      // 000000008EE0: D3B14006 18007906
	v_exp_f32_e32 v4, v4                                       // 000000008EE8: 7E084104
	v_exp_f32_e32 v5, v5                                       // 000000008EEC: 7E0A4105
	v_exp_f32_e32 v6, v6                                       // 000000008EF0: 7E0C4106
	v_exp_f32_e32 v7, v7                                       // 000000008EF4: 7E0E4107
	v_add_f32_e64 v4, v4, 1.0                                  // 000000008EF8: D1010004 0001E504
	v_add_f32_e64 v5, v5, 1.0                                  // 000000008F00: D1010005 0001E505
	v_add_f32_e64 v6, v6, 1.0                                  // 000000008F08: D1010006 0001E506
	v_add_f32_e64 v7, v7, 1.0                                  // 000000008F10: D1010007 0001E507
	v_rcp_f32_e32 v4, v4                                       // 000000008F18: 7E084504
	v_rcp_f32_e32 v5, v5                                       // 000000008F1C: 7E0A4505
	v_rcp_f32_e32 v6, v6                                       // 000000008F20: 7E0C4506
	v_rcp_f32_e32 v7, v7                                       // 000000008F24: 7E0E4507
	v_mul_f32_e32 v156, v156, v4                               // 000000008F28: 0B38099C
	v_mul_f32_e32 v157, v157, v5                               // 000000008F2C: 0B3A0B9D
	v_mul_f32_e32 v158, v158, v6                               // 000000008F30: 0B3C0D9E
	v_mul_f32_e32 v159, v159, v7                               // 000000008F34: 0B3E0F9F
	v_mul_f32_e32 v156, v156, v228                             // 000000008F38: 0B39C99C
	v_mul_f32_e32 v157, v157, v229                             // 000000008F3C: 0B3BCB9D
	v_mul_f32_e32 v158, v158, v230                             // 000000008F40: 0B3DCD9E
	v_mul_f32_e32 v159, v159, v231                             // 000000008F44: 0B3FCF9F
	s_branch label_1B93                                        // 000000008F48: BF820240

0000000000008f4c <label_1953>:
	v_mul_f32_e64 v4, -v88, s6                                 // 000000008F4C: D1050004 20000D58
	v_mul_f32_e64 v5, -v89, s6                                 // 000000008F54: D1050005 20000D59
	v_mul_f32_e64 v6, -v90, s6                                 // 000000008F5C: D1050006 20000D5A
	v_mul_f32_e64 v7, -v91, s6                                 // 000000008F64: D1050007 20000D5B
	v_exp_f32_e32 v4, v4                                       // 000000008F6C: 7E084104
	v_exp_f32_e32 v5, v5                                       // 000000008F70: 7E0A4105
	v_exp_f32_e32 v6, v6                                       // 000000008F74: 7E0C4106
	v_exp_f32_e32 v7, v7                                       // 000000008F78: 7E0E4107
	v_add_f32_e64 v4, v4, 1.0                                  // 000000008F7C: D1010004 0001E504
	v_add_f32_e64 v5, v5, 1.0                                  // 000000008F84: D1010005 0001E505
	v_add_f32_e64 v6, v6, 1.0                                  // 000000008F8C: D1010006 0001E506
	v_add_f32_e64 v7, v7, 1.0                                  // 000000008F94: D1010007 0001E507
	v_rcp_f32_e32 v4, v4                                       // 000000008F9C: 7E084504
	v_rcp_f32_e32 v5, v5                                       // 000000008FA0: 7E0A4505
	v_rcp_f32_e32 v6, v6                                       // 000000008FA4: 7E0C4506
	v_rcp_f32_e32 v7, v7                                       // 000000008FA8: 7E0E4507
	v_mul_f32_e32 v88, v88, v4                                 // 000000008FAC: 0AB00958
	v_mul_f32_e32 v89, v89, v5                                 // 000000008FB0: 0AB20B59
	v_mul_f32_e32 v90, v90, v6                                 // 000000008FB4: 0AB40D5A
	v_mul_f32_e32 v91, v91, v7                                 // 000000008FB8: 0AB60F5B
	v_mul_f32_e32 v88, v88, v160                               // 000000008FBC: 0AB14158
	v_mul_f32_e32 v89, v89, v161                               // 000000008FC0: 0AB34359
	v_mul_f32_e32 v90, v90, v162                               // 000000008FC4: 0AB5455A
	v_mul_f32_e32 v91, v91, v163                               // 000000008FC8: 0AB7475B
	v_mul_f32_e64 v4, -v92, s6                                 // 000000008FCC: D1050004 20000D5C
	v_mul_f32_e64 v5, -v93, s6                                 // 000000008FD4: D1050005 20000D5D
	v_mul_f32_e64 v6, -v94, s6                                 // 000000008FDC: D1050006 20000D5E
	v_mul_f32_e64 v7, -v95, s6                                 // 000000008FE4: D1050007 20000D5F
	v_exp_f32_e32 v4, v4                                       // 000000008FEC: 7E084104
	v_exp_f32_e32 v5, v5                                       // 000000008FF0: 7E0A4105
	v_exp_f32_e32 v6, v6                                       // 000000008FF4: 7E0C4106
	v_exp_f32_e32 v7, v7                                       // 000000008FF8: 7E0E4107
	v_add_f32_e64 v4, v4, 1.0                                  // 000000008FFC: D1010004 0001E504
	v_add_f32_e64 v5, v5, 1.0                                  // 000000009004: D1010005 0001E505
	v_add_f32_e64 v6, v6, 1.0                                  // 00000000900C: D1010006 0001E506
	v_add_f32_e64 v7, v7, 1.0                                  // 000000009014: D1010007 0001E507
	v_rcp_f32_e32 v4, v4                                       // 00000000901C: 7E084504
	v_rcp_f32_e32 v5, v5                                       // 000000009020: 7E0A4505
	v_rcp_f32_e32 v6, v6                                       // 000000009024: 7E0C4506
	v_rcp_f32_e32 v7, v7                                       // 000000009028: 7E0E4507
	v_mul_f32_e32 v92, v92, v4                                 // 00000000902C: 0AB8095C
	v_mul_f32_e32 v93, v93, v5                                 // 000000009030: 0ABA0B5D
	v_mul_f32_e32 v94, v94, v6                                 // 000000009034: 0ABC0D5E
	v_mul_f32_e32 v95, v95, v7                                 // 000000009038: 0ABE0F5F
	v_mul_f32_e32 v92, v92, v164                               // 00000000903C: 0AB9495C
	v_mul_f32_e32 v93, v93, v165                               // 000000009040: 0ABB4B5D
	v_mul_f32_e32 v94, v94, v166                               // 000000009044: 0ABD4D5E
	v_mul_f32_e32 v95, v95, v167                               // 000000009048: 0ABF4F5F
	v_mul_f32_e64 v4, -v96, s6                                 // 00000000904C: D1050004 20000D60
	v_mul_f32_e64 v5, -v97, s6                                 // 000000009054: D1050005 20000D61
	v_mul_f32_e64 v6, -v98, s6                                 // 00000000905C: D1050006 20000D62
	v_mul_f32_e64 v7, -v99, s6                                 // 000000009064: D1050007 20000D63
	v_exp_f32_e32 v4, v4                                       // 00000000906C: 7E084104
	v_exp_f32_e32 v5, v5                                       // 000000009070: 7E0A4105
	v_exp_f32_e32 v6, v6                                       // 000000009074: 7E0C4106
	v_exp_f32_e32 v7, v7                                       // 000000009078: 7E0E4107
	v_add_f32_e64 v4, v4, 1.0                                  // 00000000907C: D1010004 0001E504
	v_add_f32_e64 v5, v5, 1.0                                  // 000000009084: D1010005 0001E505
	v_add_f32_e64 v6, v6, 1.0                                  // 00000000908C: D1010006 0001E506
	v_add_f32_e64 v7, v7, 1.0                                  // 000000009094: D1010007 0001E507
	v_rcp_f32_e32 v4, v4                                       // 00000000909C: 7E084504
	v_rcp_f32_e32 v5, v5                                       // 0000000090A0: 7E0A4505
	v_rcp_f32_e32 v6, v6                                       // 0000000090A4: 7E0C4506
	v_rcp_f32_e32 v7, v7                                       // 0000000090A8: 7E0E4507
	v_mul_f32_e32 v96, v96, v4                                 // 0000000090AC: 0AC00960
	v_mul_f32_e32 v97, v97, v5                                 // 0000000090B0: 0AC20B61
	v_mul_f32_e32 v98, v98, v6                                 // 0000000090B4: 0AC40D62
	v_mul_f32_e32 v99, v99, v7                                 // 0000000090B8: 0AC60F63
	v_mul_f32_e32 v96, v96, v168                               // 0000000090BC: 0AC15160
	v_mul_f32_e32 v97, v97, v169                               // 0000000090C0: 0AC35361
	v_mul_f32_e32 v98, v98, v170                               // 0000000090C4: 0AC55562
	v_mul_f32_e32 v99, v99, v171                               // 0000000090C8: 0AC75763
	v_mul_f32_e64 v4, -v100, s6                                // 0000000090CC: D1050004 20000D64
	v_mul_f32_e64 v5, -v101, s6                                // 0000000090D4: D1050005 20000D65
	v_mul_f32_e64 v6, -v102, s6                                // 0000000090DC: D1050006 20000D66
	v_mul_f32_e64 v7, -v103, s6                                // 0000000090E4: D1050007 20000D67
	v_exp_f32_e32 v4, v4                                       // 0000000090EC: 7E084104
	v_exp_f32_e32 v5, v5                                       // 0000000090F0: 7E0A4105
	v_exp_f32_e32 v6, v6                                       // 0000000090F4: 7E0C4106
	v_exp_f32_e32 v7, v7                                       // 0000000090F8: 7E0E4107
	v_add_f32_e64 v4, v4, 1.0                                  // 0000000090FC: D1010004 0001E504
	v_add_f32_e64 v5, v5, 1.0                                  // 000000009104: D1010005 0001E505
	v_add_f32_e64 v6, v6, 1.0                                  // 00000000910C: D1010006 0001E506
	v_add_f32_e64 v7, v7, 1.0                                  // 000000009114: D1010007 0001E507
	v_rcp_f32_e32 v4, v4                                       // 00000000911C: 7E084504
	v_rcp_f32_e32 v5, v5                                       // 000000009120: 7E0A4505
	v_rcp_f32_e32 v6, v6                                       // 000000009124: 7E0C4506
	v_rcp_f32_e32 v7, v7                                       // 000000009128: 7E0E4507
	v_mul_f32_e32 v100, v100, v4                               // 00000000912C: 0AC80964
	v_mul_f32_e32 v101, v101, v5                               // 000000009130: 0ACA0B65
	v_mul_f32_e32 v102, v102, v6                               // 000000009134: 0ACC0D66
	v_mul_f32_e32 v103, v103, v7                               // 000000009138: 0ACE0F67
	v_mul_f32_e32 v100, v100, v172                             // 00000000913C: 0AC95964
	v_mul_f32_e32 v101, v101, v173                             // 000000009140: 0ACB5B65
	v_mul_f32_e32 v102, v102, v174                             // 000000009144: 0ACD5D66
	v_mul_f32_e32 v103, v103, v175                             // 000000009148: 0ACF5F67
	v_mul_f32_e64 v4, -v104, s6                                // 00000000914C: D1050004 20000D68
	v_mul_f32_e64 v5, -v105, s6                                // 000000009154: D1050005 20000D69
	v_mul_f32_e64 v6, -v106, s6                                // 00000000915C: D1050006 20000D6A
	v_mul_f32_e64 v7, -v107, s6                                // 000000009164: D1050007 20000D6B
	v_exp_f32_e32 v4, v4                                       // 00000000916C: 7E084104
	v_exp_f32_e32 v5, v5                                       // 000000009170: 7E0A4105
	v_exp_f32_e32 v6, v6                                       // 000000009174: 7E0C4106
	v_exp_f32_e32 v7, v7                                       // 000000009178: 7E0E4107
	v_add_f32_e64 v4, v4, 1.0                                  // 00000000917C: D1010004 0001E504
	v_add_f32_e64 v5, v5, 1.0                                  // 000000009184: D1010005 0001E505
	v_add_f32_e64 v6, v6, 1.0                                  // 00000000918C: D1010006 0001E506
	v_add_f32_e64 v7, v7, 1.0                                  // 000000009194: D1010007 0001E507
	v_rcp_f32_e32 v4, v4                                       // 00000000919C: 7E084504
	v_rcp_f32_e32 v5, v5                                       // 0000000091A0: 7E0A4505
	v_rcp_f32_e32 v6, v6                                       // 0000000091A4: 7E0C4506
	v_rcp_f32_e32 v7, v7                                       // 0000000091A8: 7E0E4507
	v_mul_f32_e32 v104, v104, v4                               // 0000000091AC: 0AD00968
	v_mul_f32_e32 v105, v105, v5                               // 0000000091B0: 0AD20B69
	v_mul_f32_e32 v106, v106, v6                               // 0000000091B4: 0AD40D6A
	v_mul_f32_e32 v107, v107, v7                               // 0000000091B8: 0AD60F6B
	v_mul_f32_e32 v104, v104, v176                             // 0000000091BC: 0AD16168
	v_mul_f32_e32 v105, v105, v177                             // 0000000091C0: 0AD36369
	v_mul_f32_e32 v106, v106, v178                             // 0000000091C4: 0AD5656A
	v_mul_f32_e32 v107, v107, v179                             // 0000000091C8: 0AD7676B
	v_mul_f32_e64 v4, -v108, s6                                // 0000000091CC: D1050004 20000D6C
	v_mul_f32_e64 v5, -v109, s6                                // 0000000091D4: D1050005 20000D6D
	v_mul_f32_e64 v6, -v110, s6                                // 0000000091DC: D1050006 20000D6E
	v_mul_f32_e64 v7, -v111, s6                                // 0000000091E4: D1050007 20000D6F
	v_exp_f32_e32 v4, v4                                       // 0000000091EC: 7E084104
	v_exp_f32_e32 v5, v5                                       // 0000000091F0: 7E0A4105
	v_exp_f32_e32 v6, v6                                       // 0000000091F4: 7E0C4106
	v_exp_f32_e32 v7, v7                                       // 0000000091F8: 7E0E4107
	v_add_f32_e64 v4, v4, 1.0                                  // 0000000091FC: D1010004 0001E504
	v_add_f32_e64 v5, v5, 1.0                                  // 000000009204: D1010005 0001E505
	v_add_f32_e64 v6, v6, 1.0                                  // 00000000920C: D1010006 0001E506
	v_add_f32_e64 v7, v7, 1.0                                  // 000000009214: D1010007 0001E507
	v_rcp_f32_e32 v4, v4                                       // 00000000921C: 7E084504
	v_rcp_f32_e32 v5, v5                                       // 000000009220: 7E0A4505
	v_rcp_f32_e32 v6, v6                                       // 000000009224: 7E0C4506
	v_rcp_f32_e32 v7, v7                                       // 000000009228: 7E0E4507
	v_mul_f32_e32 v108, v108, v4                               // 00000000922C: 0AD8096C
	v_mul_f32_e32 v109, v109, v5                               // 000000009230: 0ADA0B6D
	v_mul_f32_e32 v110, v110, v6                               // 000000009234: 0ADC0D6E
	v_mul_f32_e32 v111, v111, v7                               // 000000009238: 0ADE0F6F
	v_mul_f32_e32 v108, v108, v180                             // 00000000923C: 0AD9696C
	v_mul_f32_e32 v109, v109, v181                             // 000000009240: 0ADB6B6D
	v_mul_f32_e32 v110, v110, v182                             // 000000009244: 0ADD6D6E
	v_mul_f32_e32 v111, v111, v183                             // 000000009248: 0ADF6F6F
	v_mul_f32_e64 v4, -v112, s6                                // 00000000924C: D1050004 20000D70
	v_mul_f32_e64 v5, -v113, s6                                // 000000009254: D1050005 20000D71
	v_mul_f32_e64 v6, -v114, s6                                // 00000000925C: D1050006 20000D72
	v_mul_f32_e64 v7, -v115, s6                                // 000000009264: D1050007 20000D73
	v_exp_f32_e32 v4, v4                                       // 00000000926C: 7E084104
	v_exp_f32_e32 v5, v5                                       // 000000009270: 7E0A4105
	v_exp_f32_e32 v6, v6                                       // 000000009274: 7E0C4106
	v_exp_f32_e32 v7, v7                                       // 000000009278: 7E0E4107
	v_add_f32_e64 v4, v4, 1.0                                  // 00000000927C: D1010004 0001E504
	v_add_f32_e64 v5, v5, 1.0                                  // 000000009284: D1010005 0001E505
	v_add_f32_e64 v6, v6, 1.0                                  // 00000000928C: D1010006 0001E506
	v_add_f32_e64 v7, v7, 1.0                                  // 000000009294: D1010007 0001E507
	v_rcp_f32_e32 v4, v4                                       // 00000000929C: 7E084504
	v_rcp_f32_e32 v5, v5                                       // 0000000092A0: 7E0A4505
	v_rcp_f32_e32 v6, v6                                       // 0000000092A4: 7E0C4506
	v_rcp_f32_e32 v7, v7                                       // 0000000092A8: 7E0E4507
	v_mul_f32_e32 v112, v112, v4                               // 0000000092AC: 0AE00970
	v_mul_f32_e32 v113, v113, v5                               // 0000000092B0: 0AE20B71
	v_mul_f32_e32 v114, v114, v6                               // 0000000092B4: 0AE40D72
	v_mul_f32_e32 v115, v115, v7                               // 0000000092B8: 0AE60F73
	v_mul_f32_e32 v112, v112, v184                             // 0000000092BC: 0AE17170
	v_mul_f32_e32 v113, v113, v185                             // 0000000092C0: 0AE37371
	v_mul_f32_e32 v114, v114, v186                             // 0000000092C4: 0AE57572
	v_mul_f32_e32 v115, v115, v187                             // 0000000092C8: 0AE77773
	v_mul_f32_e64 v4, -v116, s6                                // 0000000092CC: D1050004 20000D74
	v_mul_f32_e64 v5, -v117, s6                                // 0000000092D4: D1050005 20000D75
	v_mul_f32_e64 v6, -v118, s6                                // 0000000092DC: D1050006 20000D76
	v_mul_f32_e64 v7, -v119, s6                                // 0000000092E4: D1050007 20000D77
	v_exp_f32_e32 v4, v4                                       // 0000000092EC: 7E084104
	v_exp_f32_e32 v5, v5                                       // 0000000092F0: 7E0A4105
	v_exp_f32_e32 v6, v6                                       // 0000000092F4: 7E0C4106
	v_exp_f32_e32 v7, v7                                       // 0000000092F8: 7E0E4107
	v_add_f32_e64 v4, v4, 1.0                                  // 0000000092FC: D1010004 0001E504
	v_add_f32_e64 v5, v5, 1.0                                  // 000000009304: D1010005 0001E505
	v_add_f32_e64 v6, v6, 1.0                                  // 00000000930C: D1010006 0001E506
	v_add_f32_e64 v7, v7, 1.0                                  // 000000009314: D1010007 0001E507
	v_rcp_f32_e32 v4, v4                                       // 00000000931C: 7E084504
	v_rcp_f32_e32 v5, v5                                       // 000000009320: 7E0A4505
	v_rcp_f32_e32 v6, v6                                       // 000000009324: 7E0C4506
	v_rcp_f32_e32 v7, v7                                       // 000000009328: 7E0E4507
	v_mul_f32_e32 v116, v116, v4                               // 00000000932C: 0AE80974
	v_mul_f32_e32 v117, v117, v5                               // 000000009330: 0AEA0B75
	v_mul_f32_e32 v118, v118, v6                               // 000000009334: 0AEC0D76
	v_mul_f32_e32 v119, v119, v7                               // 000000009338: 0AEE0F77
	v_mul_f32_e32 v116, v116, v188                             // 00000000933C: 0AE97974
	v_mul_f32_e32 v117, v117, v189                             // 000000009340: 0AEB7B75
	v_mul_f32_e32 v118, v118, v190                             // 000000009344: 0AED7D76
	v_mul_f32_e32 v119, v119, v191                             // 000000009348: 0AEF7F77
	v_mul_f32_e64 v4, -v120, s6                                // 00000000934C: D1050004 20000D78
	v_mul_f32_e64 v5, -v121, s6                                // 000000009354: D1050005 20000D79
	v_mul_f32_e64 v6, -v122, s6                                // 00000000935C: D1050006 20000D7A
	v_mul_f32_e64 v7, -v123, s6                                // 000000009364: D1050007 20000D7B
	v_exp_f32_e32 v4, v4                                       // 00000000936C: 7E084104
	v_exp_f32_e32 v5, v5                                       // 000000009370: 7E0A4105
	v_exp_f32_e32 v6, v6                                       // 000000009374: 7E0C4106
	v_exp_f32_e32 v7, v7                                       // 000000009378: 7E0E4107
	v_add_f32_e64 v4, v4, 1.0                                  // 00000000937C: D1010004 0001E504
	v_add_f32_e64 v5, v5, 1.0                                  // 000000009384: D1010005 0001E505
	v_add_f32_e64 v6, v6, 1.0                                  // 00000000938C: D1010006 0001E506
	v_add_f32_e64 v7, v7, 1.0                                  // 000000009394: D1010007 0001E507
	v_rcp_f32_e32 v4, v4                                       // 00000000939C: 7E084504
	v_rcp_f32_e32 v5, v5                                       // 0000000093A0: 7E0A4505
	v_rcp_f32_e32 v6, v6                                       // 0000000093A4: 7E0C4506
	v_rcp_f32_e32 v7, v7                                       // 0000000093A8: 7E0E4507
	v_mul_f32_e32 v120, v120, v4                               // 0000000093AC: 0AF00978
	v_mul_f32_e32 v121, v121, v5                               // 0000000093B0: 0AF20B79
	v_mul_f32_e32 v122, v122, v6                               // 0000000093B4: 0AF40D7A
	v_mul_f32_e32 v123, v123, v7                               // 0000000093B8: 0AF60F7B
	v_mul_f32_e32 v120, v120, v192                             // 0000000093BC: 0AF18178
	v_mul_f32_e32 v121, v121, v193                             // 0000000093C0: 0AF38379
	v_mul_f32_e32 v122, v122, v194                             // 0000000093C4: 0AF5857A
	v_mul_f32_e32 v123, v123, v195                             // 0000000093C8: 0AF7877B
	v_mul_f32_e64 v4, -v124, s6                                // 0000000093CC: D1050004 20000D7C
	v_mul_f32_e64 v5, -v125, s6                                // 0000000093D4: D1050005 20000D7D
	v_mul_f32_e64 v6, -v126, s6                                // 0000000093DC: D1050006 20000D7E
	v_mul_f32_e64 v7, -v127, s6                                // 0000000093E4: D1050007 20000D7F
	v_exp_f32_e32 v4, v4                                       // 0000000093EC: 7E084104
	v_exp_f32_e32 v5, v5                                       // 0000000093F0: 7E0A4105
	v_exp_f32_e32 v6, v6                                       // 0000000093F4: 7E0C4106
	v_exp_f32_e32 v7, v7                                       // 0000000093F8: 7E0E4107
	v_add_f32_e64 v4, v4, 1.0                                  // 0000000093FC: D1010004 0001E504
	v_add_f32_e64 v5, v5, 1.0                                  // 000000009404: D1010005 0001E505
	v_add_f32_e64 v6, v6, 1.0                                  // 00000000940C: D1010006 0001E506
	v_add_f32_e64 v7, v7, 1.0                                  // 000000009414: D1010007 0001E507
	v_rcp_f32_e32 v4, v4                                       // 00000000941C: 7E084504
	v_rcp_f32_e32 v5, v5                                       // 000000009420: 7E0A4505
	v_rcp_f32_e32 v6, v6                                       // 000000009424: 7E0C4506
	v_rcp_f32_e32 v7, v7                                       // 000000009428: 7E0E4507
	v_mul_f32_e32 v124, v124, v4                               // 00000000942C: 0AF8097C
	v_mul_f32_e32 v125, v125, v5                               // 000000009430: 0AFA0B7D
	v_mul_f32_e32 v126, v126, v6                               // 000000009434: 0AFC0D7E
	v_mul_f32_e32 v127, v127, v7                               // 000000009438: 0AFE0F7F
	v_mul_f32_e32 v124, v124, v196                             // 00000000943C: 0AF9897C
	v_mul_f32_e32 v125, v125, v197                             // 000000009440: 0AFB8B7D
	v_mul_f32_e32 v126, v126, v198                             // 000000009444: 0AFD8D7E
	v_mul_f32_e32 v127, v127, v199                             // 000000009448: 0AFF8F7F
	v_mul_f32_e64 v4, -v128, s6                                // 00000000944C: D1050004 20000D80
	v_mul_f32_e64 v5, -v129, s6                                // 000000009454: D1050005 20000D81
	v_mul_f32_e64 v6, -v130, s6                                // 00000000945C: D1050006 20000D82
	v_mul_f32_e64 v7, -v131, s6                                // 000000009464: D1050007 20000D83
	v_exp_f32_e32 v4, v4                                       // 00000000946C: 7E084104
	v_exp_f32_e32 v5, v5                                       // 000000009470: 7E0A4105
	v_exp_f32_e32 v6, v6                                       // 000000009474: 7E0C4106
	v_exp_f32_e32 v7, v7                                       // 000000009478: 7E0E4107
	v_add_f32_e64 v4, v4, 1.0                                  // 00000000947C: D1010004 0001E504
	v_add_f32_e64 v5, v5, 1.0                                  // 000000009484: D1010005 0001E505
	v_add_f32_e64 v6, v6, 1.0                                  // 00000000948C: D1010006 0001E506
	v_add_f32_e64 v7, v7, 1.0                                  // 000000009494: D1010007 0001E507
	v_rcp_f32_e32 v4, v4                                       // 00000000949C: 7E084504
	v_rcp_f32_e32 v5, v5                                       // 0000000094A0: 7E0A4505
	v_rcp_f32_e32 v6, v6                                       // 0000000094A4: 7E0C4506
	v_rcp_f32_e32 v7, v7                                       // 0000000094A8: 7E0E4507
	v_mul_f32_e32 v128, v128, v4                               // 0000000094AC: 0B000980
	v_mul_f32_e32 v129, v129, v5                               // 0000000094B0: 0B020B81
	v_mul_f32_e32 v130, v130, v6                               // 0000000094B4: 0B040D82
	v_mul_f32_e32 v131, v131, v7                               // 0000000094B8: 0B060F83
	v_mul_f32_e32 v128, v128, v200                             // 0000000094BC: 0B019180
	v_mul_f32_e32 v129, v129, v201                             // 0000000094C0: 0B039381
	v_mul_f32_e32 v130, v130, v202                             // 0000000094C4: 0B059582
	v_mul_f32_e32 v131, v131, v203                             // 0000000094C8: 0B079783
	v_mul_f32_e64 v4, -v132, s6                                // 0000000094CC: D1050004 20000D84
	v_mul_f32_e64 v5, -v133, s6                                // 0000000094D4: D1050005 20000D85
	v_mul_f32_e64 v6, -v134, s6                                // 0000000094DC: D1050006 20000D86
	v_mul_f32_e64 v7, -v135, s6                                // 0000000094E4: D1050007 20000D87
	v_exp_f32_e32 v4, v4                                       // 0000000094EC: 7E084104
	v_exp_f32_e32 v5, v5                                       // 0000000094F0: 7E0A4105
	v_exp_f32_e32 v6, v6                                       // 0000000094F4: 7E0C4106
	v_exp_f32_e32 v7, v7                                       // 0000000094F8: 7E0E4107
	v_add_f32_e64 v4, v4, 1.0                                  // 0000000094FC: D1010004 0001E504
	v_add_f32_e64 v5, v5, 1.0                                  // 000000009504: D1010005 0001E505
	v_add_f32_e64 v6, v6, 1.0                                  // 00000000950C: D1010006 0001E506
	v_add_f32_e64 v7, v7, 1.0                                  // 000000009514: D1010007 0001E507
	v_rcp_f32_e32 v4, v4                                       // 00000000951C: 7E084504
	v_rcp_f32_e32 v5, v5                                       // 000000009520: 7E0A4505
	v_rcp_f32_e32 v6, v6                                       // 000000009524: 7E0C4506
	v_rcp_f32_e32 v7, v7                                       // 000000009528: 7E0E4507
	v_mul_f32_e32 v132, v132, v4                               // 00000000952C: 0B080984
	v_mul_f32_e32 v133, v133, v5                               // 000000009530: 0B0A0B85
	v_mul_f32_e32 v134, v134, v6                               // 000000009534: 0B0C0D86
	v_mul_f32_e32 v135, v135, v7                               // 000000009538: 0B0E0F87
	v_mul_f32_e32 v132, v132, v204                             // 00000000953C: 0B099984
	v_mul_f32_e32 v133, v133, v205                             // 000000009540: 0B0B9B85
	v_mul_f32_e32 v134, v134, v206                             // 000000009544: 0B0D9D86
	v_mul_f32_e32 v135, v135, v207                             // 000000009548: 0B0F9F87
	v_mul_f32_e64 v4, -v136, s6                                // 00000000954C: D1050004 20000D88
	v_mul_f32_e64 v5, -v137, s6                                // 000000009554: D1050005 20000D89
	v_mul_f32_e64 v6, -v138, s6                                // 00000000955C: D1050006 20000D8A
	v_mul_f32_e64 v7, -v139, s6                                // 000000009564: D1050007 20000D8B
	v_exp_f32_e32 v4, v4                                       // 00000000956C: 7E084104
	v_exp_f32_e32 v5, v5                                       // 000000009570: 7E0A4105
	v_exp_f32_e32 v6, v6                                       // 000000009574: 7E0C4106
	v_exp_f32_e32 v7, v7                                       // 000000009578: 7E0E4107
	v_add_f32_e64 v4, v4, 1.0                                  // 00000000957C: D1010004 0001E504
	v_add_f32_e64 v5, v5, 1.0                                  // 000000009584: D1010005 0001E505
	v_add_f32_e64 v6, v6, 1.0                                  // 00000000958C: D1010006 0001E506
	v_add_f32_e64 v7, v7, 1.0                                  // 000000009594: D1010007 0001E507
	v_rcp_f32_e32 v4, v4                                       // 00000000959C: 7E084504
	v_rcp_f32_e32 v5, v5                                       // 0000000095A0: 7E0A4505
	v_rcp_f32_e32 v6, v6                                       // 0000000095A4: 7E0C4506
	v_rcp_f32_e32 v7, v7                                       // 0000000095A8: 7E0E4507
	v_mul_f32_e32 v136, v136, v4                               // 0000000095AC: 0B100988
	v_mul_f32_e32 v137, v137, v5                               // 0000000095B0: 0B120B89
	v_mul_f32_e32 v138, v138, v6                               // 0000000095B4: 0B140D8A
	v_mul_f32_e32 v139, v139, v7                               // 0000000095B8: 0B160F8B
	v_mul_f32_e32 v136, v136, v208                             // 0000000095BC: 0B11A188
	v_mul_f32_e32 v137, v137, v209                             // 0000000095C0: 0B13A389
	v_mul_f32_e32 v138, v138, v210                             // 0000000095C4: 0B15A58A
	v_mul_f32_e32 v139, v139, v211                             // 0000000095C8: 0B17A78B
	v_mul_f32_e64 v4, -v140, s6                                // 0000000095CC: D1050004 20000D8C
	v_mul_f32_e64 v5, -v141, s6                                // 0000000095D4: D1050005 20000D8D
	v_mul_f32_e64 v6, -v142, s6                                // 0000000095DC: D1050006 20000D8E
	v_mul_f32_e64 v7, -v143, s6                                // 0000000095E4: D1050007 20000D8F
	v_exp_f32_e32 v4, v4                                       // 0000000095EC: 7E084104
	v_exp_f32_e32 v5, v5                                       // 0000000095F0: 7E0A4105
	v_exp_f32_e32 v6, v6                                       // 0000000095F4: 7E0C4106
	v_exp_f32_e32 v7, v7                                       // 0000000095F8: 7E0E4107
	v_add_f32_e64 v4, v4, 1.0                                  // 0000000095FC: D1010004 0001E504
	v_add_f32_e64 v5, v5, 1.0                                  // 000000009604: D1010005 0001E505
	v_add_f32_e64 v6, v6, 1.0                                  // 00000000960C: D1010006 0001E506
	v_add_f32_e64 v7, v7, 1.0                                  // 000000009614: D1010007 0001E507
	v_rcp_f32_e32 v4, v4                                       // 00000000961C: 7E084504
	v_rcp_f32_e32 v5, v5                                       // 000000009620: 7E0A4505
	v_rcp_f32_e32 v6, v6                                       // 000000009624: 7E0C4506
	v_rcp_f32_e32 v7, v7                                       // 000000009628: 7E0E4507
	v_mul_f32_e32 v140, v140, v4                               // 00000000962C: 0B18098C
	v_mul_f32_e32 v141, v141, v5                               // 000000009630: 0B1A0B8D
	v_mul_f32_e32 v142, v142, v6                               // 000000009634: 0B1C0D8E
	v_mul_f32_e32 v143, v143, v7                               // 000000009638: 0B1E0F8F
	v_mul_f32_e32 v140, v140, v212                             // 00000000963C: 0B19A98C
	v_mul_f32_e32 v141, v141, v213                             // 000000009640: 0B1BAB8D
	v_mul_f32_e32 v142, v142, v214                             // 000000009644: 0B1DAD8E
	v_mul_f32_e32 v143, v143, v215                             // 000000009648: 0B1FAF8F
	v_mul_f32_e64 v4, -v144, s6                                // 00000000964C: D1050004 20000D90
	v_mul_f32_e64 v5, -v145, s6                                // 000000009654: D1050005 20000D91
	v_mul_f32_e64 v6, -v146, s6                                // 00000000965C: D1050006 20000D92
	v_mul_f32_e64 v7, -v147, s6                                // 000000009664: D1050007 20000D93
	v_exp_f32_e32 v4, v4                                       // 00000000966C: 7E084104
	v_exp_f32_e32 v5, v5                                       // 000000009670: 7E0A4105
	v_exp_f32_e32 v6, v6                                       // 000000009674: 7E0C4106
	v_exp_f32_e32 v7, v7                                       // 000000009678: 7E0E4107
	v_add_f32_e64 v4, v4, 1.0                                  // 00000000967C: D1010004 0001E504
	v_add_f32_e64 v5, v5, 1.0                                  // 000000009684: D1010005 0001E505
	v_add_f32_e64 v6, v6, 1.0                                  // 00000000968C: D1010006 0001E506
	v_add_f32_e64 v7, v7, 1.0                                  // 000000009694: D1010007 0001E507
	v_rcp_f32_e32 v4, v4                                       // 00000000969C: 7E084504
	v_rcp_f32_e32 v5, v5                                       // 0000000096A0: 7E0A4505
	v_rcp_f32_e32 v6, v6                                       // 0000000096A4: 7E0C4506
	v_rcp_f32_e32 v7, v7                                       // 0000000096A8: 7E0E4507
	v_mul_f32_e32 v144, v144, v4                               // 0000000096AC: 0B200990
	v_mul_f32_e32 v145, v145, v5                               // 0000000096B0: 0B220B91
	v_mul_f32_e32 v146, v146, v6                               // 0000000096B4: 0B240D92
	v_mul_f32_e32 v147, v147, v7                               // 0000000096B8: 0B260F93
	v_mul_f32_e32 v144, v144, v216                             // 0000000096BC: 0B21B190
	v_mul_f32_e32 v145, v145, v217                             // 0000000096C0: 0B23B391
	v_mul_f32_e32 v146, v146, v218                             // 0000000096C4: 0B25B592
	v_mul_f32_e32 v147, v147, v219                             // 0000000096C8: 0B27B793
	v_mul_f32_e64 v4, -v148, s6                                // 0000000096CC: D1050004 20000D94
	v_mul_f32_e64 v5, -v149, s6                                // 0000000096D4: D1050005 20000D95
	v_mul_f32_e64 v6, -v150, s6                                // 0000000096DC: D1050006 20000D96
	v_mul_f32_e64 v7, -v151, s6                                // 0000000096E4: D1050007 20000D97
	v_exp_f32_e32 v4, v4                                       // 0000000096EC: 7E084104
	v_exp_f32_e32 v5, v5                                       // 0000000096F0: 7E0A4105
	v_exp_f32_e32 v6, v6                                       // 0000000096F4: 7E0C4106
	v_exp_f32_e32 v7, v7                                       // 0000000096F8: 7E0E4107
	v_add_f32_e64 v4, v4, 1.0                                  // 0000000096FC: D1010004 0001E504
	v_add_f32_e64 v5, v5, 1.0                                  // 000000009704: D1010005 0001E505
	v_add_f32_e64 v6, v6, 1.0                                  // 00000000970C: D1010006 0001E506
	v_add_f32_e64 v7, v7, 1.0                                  // 000000009714: D1010007 0001E507
	v_rcp_f32_e32 v4, v4                                       // 00000000971C: 7E084504
	v_rcp_f32_e32 v5, v5                                       // 000000009720: 7E0A4505
	v_rcp_f32_e32 v6, v6                                       // 000000009724: 7E0C4506
	v_rcp_f32_e32 v7, v7                                       // 000000009728: 7E0E4507
	v_mul_f32_e32 v148, v148, v4                               // 00000000972C: 0B280994
	v_mul_f32_e32 v149, v149, v5                               // 000000009730: 0B2A0B95
	v_mul_f32_e32 v150, v150, v6                               // 000000009734: 0B2C0D96
	v_mul_f32_e32 v151, v151, v7                               // 000000009738: 0B2E0F97
	v_mul_f32_e32 v148, v148, v220                             // 00000000973C: 0B29B994
	v_mul_f32_e32 v149, v149, v221                             // 000000009740: 0B2BBB95
	v_mul_f32_e32 v150, v150, v222                             // 000000009744: 0B2DBD96
	v_mul_f32_e32 v151, v151, v223                             // 000000009748: 0B2FBF97
	v_mul_f32_e64 v4, -v152, s6                                // 00000000974C: D1050004 20000D98
	v_mul_f32_e64 v5, -v153, s6                                // 000000009754: D1050005 20000D99
	v_mul_f32_e64 v6, -v154, s6                                // 00000000975C: D1050006 20000D9A
	v_mul_f32_e64 v7, -v155, s6                                // 000000009764: D1050007 20000D9B
	v_exp_f32_e32 v4, v4                                       // 00000000976C: 7E084104
	v_exp_f32_e32 v5, v5                                       // 000000009770: 7E0A4105
	v_exp_f32_e32 v6, v6                                       // 000000009774: 7E0C4106
	v_exp_f32_e32 v7, v7                                       // 000000009778: 7E0E4107
	v_add_f32_e64 v4, v4, 1.0                                  // 00000000977C: D1010004 0001E504
	v_add_f32_e64 v5, v5, 1.0                                  // 000000009784: D1010005 0001E505
	v_add_f32_e64 v6, v6, 1.0                                  // 00000000978C: D1010006 0001E506
	v_add_f32_e64 v7, v7, 1.0                                  // 000000009794: D1010007 0001E507
	v_rcp_f32_e32 v4, v4                                       // 00000000979C: 7E084504
	v_rcp_f32_e32 v5, v5                                       // 0000000097A0: 7E0A4505
	v_rcp_f32_e32 v6, v6                                       // 0000000097A4: 7E0C4506
	v_rcp_f32_e32 v7, v7                                       // 0000000097A8: 7E0E4507
	v_mul_f32_e32 v152, v152, v4                               // 0000000097AC: 0B300998
	v_mul_f32_e32 v153, v153, v5                               // 0000000097B0: 0B320B99
	v_mul_f32_e32 v154, v154, v6                               // 0000000097B4: 0B340D9A
	v_mul_f32_e32 v155, v155, v7                               // 0000000097B8: 0B360F9B
	v_mul_f32_e32 v152, v152, v224                             // 0000000097BC: 0B31C198
	v_mul_f32_e32 v153, v153, v225                             // 0000000097C0: 0B33C399
	v_mul_f32_e32 v154, v154, v226                             // 0000000097C4: 0B35C59A
	v_mul_f32_e32 v155, v155, v227                             // 0000000097C8: 0B37C79B
	v_mul_f32_e64 v4, -v156, s6                                // 0000000097CC: D1050004 20000D9C
	v_mul_f32_e64 v5, -v157, s6                                // 0000000097D4: D1050005 20000D9D
	v_mul_f32_e64 v6, -v158, s6                                // 0000000097DC: D1050006 20000D9E
	v_mul_f32_e64 v7, -v159, s6                                // 0000000097E4: D1050007 20000D9F
	v_exp_f32_e32 v4, v4                                       // 0000000097EC: 7E084104
	v_exp_f32_e32 v5, v5                                       // 0000000097F0: 7E0A4105
	v_exp_f32_e32 v6, v6                                       // 0000000097F4: 7E0C4106
	v_exp_f32_e32 v7, v7                                       // 0000000097F8: 7E0E4107
	v_add_f32_e64 v4, v4, 1.0                                  // 0000000097FC: D1010004 0001E504
	v_add_f32_e64 v5, v5, 1.0                                  // 000000009804: D1010005 0001E505
	v_add_f32_e64 v6, v6, 1.0                                  // 00000000980C: D1010006 0001E506
	v_add_f32_e64 v7, v7, 1.0                                  // 000000009814: D1010007 0001E507
	v_rcp_f32_e32 v4, v4                                       // 00000000981C: 7E084504
	v_rcp_f32_e32 v5, v5                                       // 000000009820: 7E0A4505
	v_rcp_f32_e32 v6, v6                                       // 000000009824: 7E0C4506
	v_rcp_f32_e32 v7, v7                                       // 000000009828: 7E0E4507
	v_mul_f32_e32 v156, v156, v4                               // 00000000982C: 0B38099C
	v_mul_f32_e32 v157, v157, v5                               // 000000009830: 0B3A0B9D
	v_mul_f32_e32 v158, v158, v6                               // 000000009834: 0B3C0D9E
	v_mul_f32_e32 v159, v159, v7                               // 000000009838: 0B3E0F9F
	v_mul_f32_e32 v156, v156, v228                             // 00000000983C: 0B39C99C
	v_mul_f32_e32 v157, v157, v229                             // 000000009840: 0B3BCB9D
	v_mul_f32_e32 v158, v158, v230                             // 000000009844: 0B3DCD9E
	v_mul_f32_e32 v159, v159, v231                             // 000000009848: 0B3FCF9F

000000000000984c <label_1B93>:
	s_cmp_eq_u32 s7, 0                                         // 00000000984C: BF068007
	s_cbranch_scc0 label_1BB2                                  // 000000009850: BF84001D
	v_and_b32_e32 v4, 15, v0                                   // 000000009854: 2608008F
	v_lshlrev_b32_e32 v4, 2, v4                                // 000000009858: 24080882
	buffer_load_dword v30, v4, s[12:15], 0 offen               // 00000000985C: E0501000 80031E04
	v_add_u32_e32 v4, 64, v4                                   // 000000009864: 680808C0
	buffer_load_dword v31, v4, s[12:15], 0 offen               // 000000009868: E0501000 80031F04
	v_add_u32_e32 v4, 64, v4                                   // 000000009870: 680808C0
	buffer_load_dword v32, v4, s[12:15], 0 offen               // 000000009874: E0501000 80032004
	v_add_u32_e32 v4, 64, v4                                   // 00000000987C: 680808C0
	buffer_load_dword v33, v4, s[12:15], 0 offen               // 000000009880: E0501000 80032104
	v_add_u32_e32 v4, 64, v4                                   // 000000009888: 680808C0
	buffer_load_dword v34, v4, s[12:15], 0 offen               // 00000000988C: E0501000 80032204
	v_add_u32_e32 v4, 64, v4                                   // 000000009894: 680808C0
	buffer_load_dword v35, v4, s[12:15], 0 offen               // 000000009898: E0501000 80032304
	v_add_u32_e32 v4, 64, v4                                   // 0000000098A0: 680808C0
	buffer_load_dword v36, v4, s[12:15], 0 offen               // 0000000098A4: E0501000 80032404
	v_add_u32_e32 v4, 64, v4                                   // 0000000098AC: 680808C0
	buffer_load_dword v37, v4, s[12:15], 0 offen               // 0000000098B0: E0501000 80032504
	v_add_u32_e32 v4, 64, v4                                   // 0000000098B8: 680808C0
	buffer_load_dword v38, v4, s[12:15], 0 offen               // 0000000098BC: E0501000 80032604
	v_add_u32_e32 v4, 64, v4                                   // 0000000098C4: 680808C0

00000000000098c8 <label_1BB2>:
	v_lshlrev_b32_e32 v4, 2, v0                                // 0000000098C8: 24080082
	s_mul_i32 s60, 0x100, s7                                   // 0000000098CC: 923C07FF 00000100
	v_add_u32_e32 v169, s60, v4                                // 0000000098D4: 6952083C
	v_and_b32_e32 v4, 15, v0                                   // 0000000098D8: 2608008F
	v_lshlrev_b32_e32 v170, 2, v4                              // 0000000098DC: 25540882
	s_waitcnt lgkmcnt(0)                                       // 0000000098E0: BF8CC07F
	s_barrier                                                  // 0000000098E4: BF8A0000
	v_mov_b32_e32 v160, 0x358637bd                             // 0000000098E8: 7F4002FF 358637BD
	v_max3_f32 v160, |v88|, |v89|, v160                        // 0000000098F0: D1D303A0 0682B358
	v_max3_f32 v160, |v90|, |v91|, v160                        // 0000000098F8: D1D303A0 0682B75A
	v_max3_f32 v160, |v124|, |v125|, v160                      // 000000009900: D1D303A0 0682FB7C
	v_max3_f32 v160, |v126|, |v127|, v160                      // 000000009908: D1D303A0 0682FF7E
	ds_write_b32 v169, v160                                    // 000000009910: D81A0000 0000A0A9
	s_waitcnt lgkmcnt(0)                                       // 000000009918: BF8CC07F
	s_barrier                                                  // 00000000991C: BF8A0000
	ds_read_b32 v4, v170                                       // 000000009920: D86C0000 040000AA
	ds_read_b32 v5, v170 offset:64                             // 000000009928: D86C0040 050000AA
	ds_read_b32 v6, v170 offset:128                            // 000000009930: D86C0080 060000AA
	ds_read_b32 v7, v170 offset:192                            // 000000009938: D86C00C0 070000AA
	ds_read_b32 v8, v170 offset:256                            // 000000009940: D86C0100 080000AA
	ds_read_b32 v9, v170 offset:320                            // 000000009948: D86C0140 090000AA
	ds_read_b32 v10, v170 offset:384                           // 000000009950: D86C0180 0A0000AA
	ds_read_b32 v11, v170 offset:448                           // 000000009958: D86C01C0 0B0000AA
	ds_read_b32 v12, v170 offset:512                           // 000000009960: D86C0200 0C0000AA
	ds_read_b32 v13, v170 offset:576                           // 000000009968: D86C0240 0D0000AA
	ds_read_b32 v14, v170 offset:640                           // 000000009970: D86C0280 0E0000AA
	ds_read_b32 v15, v170 offset:704                           // 000000009978: D86C02C0 0F0000AA
	ds_read_b32 v16, v170 offset:768                           // 000000009980: D86C0300 100000AA
	ds_read_b32 v17, v170 offset:832                           // 000000009988: D86C0340 110000AA
	ds_read_b32 v18, v170 offset:896                           // 000000009990: D86C0380 120000AA
	ds_read_b32 v19, v170 offset:960                           // 000000009998: D86C03C0 130000AA
	s_waitcnt lgkmcnt(0)                                       // 0000000099A0: BF8CC07F
	s_barrier                                                  // 0000000099A4: BF8A0000
	v_max3_f32 v160, |v4|, |v5|, v160                          // 0000000099A8: D1D303A0 06820B04
	v_max3_f32 v160, |v6|, |v7|, v160                          // 0000000099B0: D1D303A0 06820F06
	v_max3_f32 v160, |v8|, |v9|, v160                          // 0000000099B8: D1D303A0 06821308
	v_max3_f32 v160, |v10|, |v11|, v160                        // 0000000099C0: D1D303A0 0682170A
	v_max3_f32 v160, |v12|, |v13|, v160                        // 0000000099C8: D1D303A0 06821B0C
	v_max3_f32 v160, |v14|, |v15|, v160                        // 0000000099D0: D1D303A0 06821F0E
	v_max3_f32 v160, |v16|, |v17|, v160                        // 0000000099D8: D1D303A0 06822310
	v_max3_f32 v160, |v18|, |v19|, v160                        // 0000000099E0: D1D303A0 06822712
	v_rcp_f32_e32 v160, v160                                   // 0000000099E8: 7F4045A0
	v_mov_b32_e32 v4, 0x43700000                               // 0000000099EC: 7E0802FF 43700000
	v_mul_f32_e32 v160, v4, v160                               // 0000000099F4: 0B414104
	v_mov_b32_e32 v4, v160                                     // 0000000099F8: 7E0803A0
	v_mov_b32_e32 v5, v4                                       // 0000000099FC: 7E0A0304
	v_pk_mul_f32 v[88:89], v[4:5], v[88:89]                    // 000000009A00: D3B14058 1802B104
	v_pk_mul_f32 v[90:91], v[4:5], v[90:91]                    // 000000009A08: D3B1405A 1802B504
	v_cvt_pk_fp8_f32 v88, v88, v89                             // 000000009A10: D2A20058 0002B358
	v_cvt_pk_fp8_f32 v88, v90, v91 op_sel:[0,0,1]              // 000000009A18: D2A24058 0002B75A
	v_pk_mul_f32 v[124:125], v[4:5], v[124:125]                // 000000009A20: D3B1407C 1802F904
	v_pk_mul_f32 v[126:127], v[4:5], v[126:127]                // 000000009A28: D3B1407E 1802FD04
	v_cvt_pk_fp8_f32 v124, v124, v125                          // 000000009A30: D2A2007C 0002FB7C
	v_cvt_pk_fp8_f32 v124, v126, v127 op_sel:[0,0,1]           // 000000009A38: D2A2407C 0002FF7E
	v_rcp_f32_e32 v160, v160                                   // 000000009A40: 7F4045A0
	v_mov_b32_e32 v161, 0x358637bd                             // 000000009A44: 7F4202FF 358637BD
	v_max3_f32 v161, |v92|, |v93|, v161                        // 000000009A4C: D1D303A1 0686BB5C
	v_max3_f32 v161, |v94|, |v95|, v161                        // 000000009A54: D1D303A1 0686BF5E
	v_max3_f32 v161, |v128|, |v129|, v161                      // 000000009A5C: D1D303A1 06870380
	v_max3_f32 v161, |v130|, |v131|, v161                      // 000000009A64: D1D303A1 06870782
	ds_write_b32 v169, v161                                    // 000000009A6C: D81A0000 0000A1A9
	s_waitcnt lgkmcnt(0)                                       // 000000009A74: BF8CC07F
	s_barrier                                                  // 000000009A78: BF8A0000
	ds_read_b32 v4, v170                                       // 000000009A7C: D86C0000 040000AA
	ds_read_b32 v5, v170 offset:64                             // 000000009A84: D86C0040 050000AA
	ds_read_b32 v6, v170 offset:128                            // 000000009A8C: D86C0080 060000AA
	ds_read_b32 v7, v170 offset:192                            // 000000009A94: D86C00C0 070000AA
	ds_read_b32 v8, v170 offset:256                            // 000000009A9C: D86C0100 080000AA
	ds_read_b32 v9, v170 offset:320                            // 000000009AA4: D86C0140 090000AA
	ds_read_b32 v10, v170 offset:384                           // 000000009AAC: D86C0180 0A0000AA
	ds_read_b32 v11, v170 offset:448                           // 000000009AB4: D86C01C0 0B0000AA
	ds_read_b32 v12, v170 offset:512                           // 000000009ABC: D86C0200 0C0000AA
	ds_read_b32 v13, v170 offset:576                           // 000000009AC4: D86C0240 0D0000AA
	ds_read_b32 v14, v170 offset:640                           // 000000009ACC: D86C0280 0E0000AA
	ds_read_b32 v15, v170 offset:704                           // 000000009AD4: D86C02C0 0F0000AA
	ds_read_b32 v16, v170 offset:768                           // 000000009ADC: D86C0300 100000AA
	ds_read_b32 v17, v170 offset:832                           // 000000009AE4: D86C0340 110000AA
	ds_read_b32 v18, v170 offset:896                           // 000000009AEC: D86C0380 120000AA
	ds_read_b32 v19, v170 offset:960                           // 000000009AF4: D86C03C0 130000AA
	s_waitcnt lgkmcnt(0)                                       // 000000009AFC: BF8CC07F
	s_barrier                                                  // 000000009B00: BF8A0000
	v_max3_f32 v161, |v4|, |v5|, v161                          // 000000009B04: D1D303A1 06860B04
	v_max3_f32 v161, |v6|, |v7|, v161                          // 000000009B0C: D1D303A1 06860F06
	v_max3_f32 v161, |v8|, |v9|, v161                          // 000000009B14: D1D303A1 06861308
	v_max3_f32 v161, |v10|, |v11|, v161                        // 000000009B1C: D1D303A1 0686170A
	v_max3_f32 v161, |v12|, |v13|, v161                        // 000000009B24: D1D303A1 06861B0C
	v_max3_f32 v161, |v14|, |v15|, v161                        // 000000009B2C: D1D303A1 06861F0E
	v_max3_f32 v161, |v16|, |v17|, v161                        // 000000009B34: D1D303A1 06862310
	v_max3_f32 v161, |v18|, |v19|, v161                        // 000000009B3C: D1D303A1 06862712
	v_rcp_f32_e32 v161, v161                                   // 000000009B44: 7F4245A1
	v_mov_b32_e32 v4, 0x43700000                               // 000000009B48: 7E0802FF 43700000
	v_mul_f32_e32 v161, v4, v161                               // 000000009B50: 0B434304
	v_mov_b32_e32 v4, v161                                     // 000000009B54: 7E0803A1
	v_mov_b32_e32 v5, v4                                       // 000000009B58: 7E0A0304
	v_pk_mul_f32 v[92:93], v[4:5], v[92:93]                    // 000000009B5C: D3B1405C 1802B904
	v_pk_mul_f32 v[94:95], v[4:5], v[94:95]                    // 000000009B64: D3B1405E 1802BD04
	v_cvt_pk_fp8_f32 v92, v92, v93                             // 000000009B6C: D2A2005C 0002BB5C
	v_cvt_pk_fp8_f32 v92, v94, v95 op_sel:[0,0,1]              // 000000009B74: D2A2405C 0002BF5E
	v_pk_mul_f32 v[128:129], v[4:5], v[128:129]                // 000000009B7C: D3B14080 18030104
	v_pk_mul_f32 v[130:131], v[4:5], v[130:131]                // 000000009B84: D3B14082 18030504
	v_cvt_pk_fp8_f32 v128, v128, v129                          // 000000009B8C: D2A20080 00030380
	v_cvt_pk_fp8_f32 v128, v130, v131 op_sel:[0,0,1]           // 000000009B94: D2A24080 00030782
	v_rcp_f32_e32 v161, v161                                   // 000000009B9C: 7F4245A1
	v_mov_b32_e32 v162, 0x358637bd                             // 000000009BA0: 7F4402FF 358637BD
	v_max3_f32 v162, |v96|, |v97|, v162                        // 000000009BA8: D1D303A2 068AC360
	v_max3_f32 v162, |v98|, |v99|, v162                        // 000000009BB0: D1D303A2 068AC762
	v_max3_f32 v162, |v132|, |v133|, v162                      // 000000009BB8: D1D303A2 068B0B84
	v_max3_f32 v162, |v134|, |v135|, v162                      // 000000009BC0: D1D303A2 068B0F86
	ds_write_b32 v169, v162                                    // 000000009BC8: D81A0000 0000A2A9
	s_waitcnt lgkmcnt(0)                                       // 000000009BD0: BF8CC07F
	s_barrier                                                  // 000000009BD4: BF8A0000
	ds_read_b32 v4, v170                                       // 000000009BD8: D86C0000 040000AA
	ds_read_b32 v5, v170 offset:64                             // 000000009BE0: D86C0040 050000AA
	ds_read_b32 v6, v170 offset:128                            // 000000009BE8: D86C0080 060000AA
	ds_read_b32 v7, v170 offset:192                            // 000000009BF0: D86C00C0 070000AA
	ds_read_b32 v8, v170 offset:256                            // 000000009BF8: D86C0100 080000AA
	ds_read_b32 v9, v170 offset:320                            // 000000009C00: D86C0140 090000AA
	ds_read_b32 v10, v170 offset:384                           // 000000009C08: D86C0180 0A0000AA
	ds_read_b32 v11, v170 offset:448                           // 000000009C10: D86C01C0 0B0000AA
	ds_read_b32 v12, v170 offset:512                           // 000000009C18: D86C0200 0C0000AA
	ds_read_b32 v13, v170 offset:576                           // 000000009C20: D86C0240 0D0000AA
	ds_read_b32 v14, v170 offset:640                           // 000000009C28: D86C0280 0E0000AA
	ds_read_b32 v15, v170 offset:704                           // 000000009C30: D86C02C0 0F0000AA
	ds_read_b32 v16, v170 offset:768                           // 000000009C38: D86C0300 100000AA
	ds_read_b32 v17, v170 offset:832                           // 000000009C40: D86C0340 110000AA
	ds_read_b32 v18, v170 offset:896                           // 000000009C48: D86C0380 120000AA
	ds_read_b32 v19, v170 offset:960                           // 000000009C50: D86C03C0 130000AA
	s_waitcnt lgkmcnt(0)                                       // 000000009C58: BF8CC07F
	s_barrier                                                  // 000000009C5C: BF8A0000
	v_max3_f32 v162, |v4|, |v5|, v162                          // 000000009C60: D1D303A2 068A0B04
	v_max3_f32 v162, |v6|, |v7|, v162                          // 000000009C68: D1D303A2 068A0F06
	v_max3_f32 v162, |v8|, |v9|, v162                          // 000000009C70: D1D303A2 068A1308
	v_max3_f32 v162, |v10|, |v11|, v162                        // 000000009C78: D1D303A2 068A170A
	v_max3_f32 v162, |v12|, |v13|, v162                        // 000000009C80: D1D303A2 068A1B0C
	v_max3_f32 v162, |v14|, |v15|, v162                        // 000000009C88: D1D303A2 068A1F0E
	v_max3_f32 v162, |v16|, |v17|, v162                        // 000000009C90: D1D303A2 068A2310
	v_max3_f32 v162, |v18|, |v19|, v162                        // 000000009C98: D1D303A2 068A2712
	v_rcp_f32_e32 v162, v162                                   // 000000009CA0: 7F4445A2
	v_mov_b32_e32 v4, 0x43700000                               // 000000009CA4: 7E0802FF 43700000
	v_mul_f32_e32 v162, v4, v162                               // 000000009CAC: 0B454504
	v_mov_b32_e32 v4, v162                                     // 000000009CB0: 7E0803A2
	v_mov_b32_e32 v5, v4                                       // 000000009CB4: 7E0A0304
	v_pk_mul_f32 v[96:97], v[4:5], v[96:97]                    // 000000009CB8: D3B14060 1802C104
	v_pk_mul_f32 v[98:99], v[4:5], v[98:99]                    // 000000009CC0: D3B14062 1802C504
	v_cvt_pk_fp8_f32 v96, v96, v97                             // 000000009CC8: D2A20060 0002C360
	v_cvt_pk_fp8_f32 v96, v98, v99 op_sel:[0,0,1]              // 000000009CD0: D2A24060 0002C762
	v_pk_mul_f32 v[132:133], v[4:5], v[132:133]                // 000000009CD8: D3B14084 18030904
	v_pk_mul_f32 v[134:135], v[4:5], v[134:135]                // 000000009CE0: D3B14086 18030D04
	v_cvt_pk_fp8_f32 v132, v132, v133                          // 000000009CE8: D2A20084 00030B84
	v_cvt_pk_fp8_f32 v132, v134, v135 op_sel:[0,0,1]           // 000000009CF0: D2A24084 00030F86
	v_rcp_f32_e32 v162, v162                                   // 000000009CF8: 7F4445A2
	v_mov_b32_e32 v163, 0x358637bd                             // 000000009CFC: 7F4602FF 358637BD
	v_max3_f32 v163, |v100|, |v101|, v163                      // 000000009D04: D1D303A3 068ECB64
	v_max3_f32 v163, |v102|, |v103|, v163                      // 000000009D0C: D1D303A3 068ECF66
	v_max3_f32 v163, |v136|, |v137|, v163                      // 000000009D14: D1D303A3 068F1388
	v_max3_f32 v163, |v138|, |v139|, v163                      // 000000009D1C: D1D303A3 068F178A
	ds_write_b32 v169, v163                                    // 000000009D24: D81A0000 0000A3A9
	s_waitcnt lgkmcnt(0)                                       // 000000009D2C: BF8CC07F
	s_barrier                                                  // 000000009D30: BF8A0000
	ds_read_b32 v4, v170                                       // 000000009D34: D86C0000 040000AA
	ds_read_b32 v5, v170 offset:64                             // 000000009D3C: D86C0040 050000AA
	ds_read_b32 v6, v170 offset:128                            // 000000009D44: D86C0080 060000AA
	ds_read_b32 v7, v170 offset:192                            // 000000009D4C: D86C00C0 070000AA
	ds_read_b32 v8, v170 offset:256                            // 000000009D54: D86C0100 080000AA
	ds_read_b32 v9, v170 offset:320                            // 000000009D5C: D86C0140 090000AA
	ds_read_b32 v10, v170 offset:384                           // 000000009D64: D86C0180 0A0000AA
	ds_read_b32 v11, v170 offset:448                           // 000000009D6C: D86C01C0 0B0000AA
	ds_read_b32 v12, v170 offset:512                           // 000000009D74: D86C0200 0C0000AA
	ds_read_b32 v13, v170 offset:576                           // 000000009D7C: D86C0240 0D0000AA
	ds_read_b32 v14, v170 offset:640                           // 000000009D84: D86C0280 0E0000AA
	ds_read_b32 v15, v170 offset:704                           // 000000009D8C: D86C02C0 0F0000AA
	ds_read_b32 v16, v170 offset:768                           // 000000009D94: D86C0300 100000AA
	ds_read_b32 v17, v170 offset:832                           // 000000009D9C: D86C0340 110000AA
	ds_read_b32 v18, v170 offset:896                           // 000000009DA4: D86C0380 120000AA
	ds_read_b32 v19, v170 offset:960                           // 000000009DAC: D86C03C0 130000AA
	s_waitcnt lgkmcnt(0)                                       // 000000009DB4: BF8CC07F
	s_barrier                                                  // 000000009DB8: BF8A0000
	v_max3_f32 v163, |v4|, |v5|, v163                          // 000000009DBC: D1D303A3 068E0B04
	v_max3_f32 v163, |v6|, |v7|, v163                          // 000000009DC4: D1D303A3 068E0F06
	v_max3_f32 v163, |v8|, |v9|, v163                          // 000000009DCC: D1D303A3 068E1308
	v_max3_f32 v163, |v10|, |v11|, v163                        // 000000009DD4: D1D303A3 068E170A
	v_max3_f32 v163, |v12|, |v13|, v163                        // 000000009DDC: D1D303A3 068E1B0C
	v_max3_f32 v163, |v14|, |v15|, v163                        // 000000009DE4: D1D303A3 068E1F0E
	v_max3_f32 v163, |v16|, |v17|, v163                        // 000000009DEC: D1D303A3 068E2310
	v_max3_f32 v163, |v18|, |v19|, v163                        // 000000009DF4: D1D303A3 068E2712
	v_rcp_f32_e32 v163, v163                                   // 000000009DFC: 7F4645A3
	v_mov_b32_e32 v4, 0x43700000                               // 000000009E00: 7E0802FF 43700000
	v_mul_f32_e32 v163, v4, v163                               // 000000009E08: 0B474704
	v_mov_b32_e32 v4, v163                                     // 000000009E0C: 7E0803A3
	v_mov_b32_e32 v5, v4                                       // 000000009E10: 7E0A0304
	v_pk_mul_f32 v[100:101], v[4:5], v[100:101]                // 000000009E14: D3B14064 1802C904
	v_pk_mul_f32 v[102:103], v[4:5], v[102:103]                // 000000009E1C: D3B14066 1802CD04
	v_cvt_pk_fp8_f32 v100, v100, v101                          // 000000009E24: D2A20064 0002CB64
	v_cvt_pk_fp8_f32 v100, v102, v103 op_sel:[0,0,1]           // 000000009E2C: D2A24064 0002CF66
	v_pk_mul_f32 v[136:137], v[4:5], v[136:137]                // 000000009E34: D3B14088 18031104
	v_pk_mul_f32 v[138:139], v[4:5], v[138:139]                // 000000009E3C: D3B1408A 18031504
	v_cvt_pk_fp8_f32 v136, v136, v137                          // 000000009E44: D2A20088 00031388
	v_cvt_pk_fp8_f32 v136, v138, v139 op_sel:[0,0,1]           // 000000009E4C: D2A24088 0003178A
	v_rcp_f32_e32 v163, v163                                   // 000000009E54: 7F4645A3
	v_mov_b32_e32 v164, 0x358637bd                             // 000000009E58: 7F4802FF 358637BD
	v_max3_f32 v164, |v104|, |v105|, v164                      // 000000009E60: D1D303A4 0692D368
	v_max3_f32 v164, |v106|, |v107|, v164                      // 000000009E68: D1D303A4 0692D76A
	v_max3_f32 v164, |v140|, |v141|, v164                      // 000000009E70: D1D303A4 06931B8C
	v_max3_f32 v164, |v142|, |v143|, v164                      // 000000009E78: D1D303A4 06931F8E
	ds_write_b32 v169, v164                                    // 000000009E80: D81A0000 0000A4A9
	s_waitcnt lgkmcnt(0)                                       // 000000009E88: BF8CC07F
	s_barrier                                                  // 000000009E8C: BF8A0000
	ds_read_b32 v4, v170                                       // 000000009E90: D86C0000 040000AA
	ds_read_b32 v5, v170 offset:64                             // 000000009E98: D86C0040 050000AA
	ds_read_b32 v6, v170 offset:128                            // 000000009EA0: D86C0080 060000AA
	ds_read_b32 v7, v170 offset:192                            // 000000009EA8: D86C00C0 070000AA
	ds_read_b32 v8, v170 offset:256                            // 000000009EB0: D86C0100 080000AA
	ds_read_b32 v9, v170 offset:320                            // 000000009EB8: D86C0140 090000AA
	ds_read_b32 v10, v170 offset:384                           // 000000009EC0: D86C0180 0A0000AA
	ds_read_b32 v11, v170 offset:448                           // 000000009EC8: D86C01C0 0B0000AA
	ds_read_b32 v12, v170 offset:512                           // 000000009ED0: D86C0200 0C0000AA
	ds_read_b32 v13, v170 offset:576                           // 000000009ED8: D86C0240 0D0000AA
	ds_read_b32 v14, v170 offset:640                           // 000000009EE0: D86C0280 0E0000AA
	ds_read_b32 v15, v170 offset:704                           // 000000009EE8: D86C02C0 0F0000AA
	ds_read_b32 v16, v170 offset:768                           // 000000009EF0: D86C0300 100000AA
	ds_read_b32 v17, v170 offset:832                           // 000000009EF8: D86C0340 110000AA
	ds_read_b32 v18, v170 offset:896                           // 000000009F00: D86C0380 120000AA
	ds_read_b32 v19, v170 offset:960                           // 000000009F08: D86C03C0 130000AA
	s_waitcnt lgkmcnt(0)                                       // 000000009F10: BF8CC07F
	s_barrier                                                  // 000000009F14: BF8A0000
	v_max3_f32 v164, |v4|, |v5|, v164                          // 000000009F18: D1D303A4 06920B04
	v_max3_f32 v164, |v6|, |v7|, v164                          // 000000009F20: D1D303A4 06920F06
	v_max3_f32 v164, |v8|, |v9|, v164                          // 000000009F28: D1D303A4 06921308
	v_max3_f32 v164, |v10|, |v11|, v164                        // 000000009F30: D1D303A4 0692170A
	v_max3_f32 v164, |v12|, |v13|, v164                        // 000000009F38: D1D303A4 06921B0C
	v_max3_f32 v164, |v14|, |v15|, v164                        // 000000009F40: D1D303A4 06921F0E
	v_max3_f32 v164, |v16|, |v17|, v164                        // 000000009F48: D1D303A4 06922310
	v_max3_f32 v164, |v18|, |v19|, v164                        // 000000009F50: D1D303A4 06922712
	v_rcp_f32_e32 v164, v164                                   // 000000009F58: 7F4845A4
	v_mov_b32_e32 v4, 0x43700000                               // 000000009F5C: 7E0802FF 43700000
	v_mul_f32_e32 v164, v4, v164                               // 000000009F64: 0B494904
	v_mov_b32_e32 v4, v164                                     // 000000009F68: 7E0803A4
	v_mov_b32_e32 v5, v4                                       // 000000009F6C: 7E0A0304
	v_pk_mul_f32 v[104:105], v[4:5], v[104:105]                // 000000009F70: D3B14068 1802D104
	v_pk_mul_f32 v[106:107], v[4:5], v[106:107]                // 000000009F78: D3B1406A 1802D504
	v_cvt_pk_fp8_f32 v104, v104, v105                          // 000000009F80: D2A20068 0002D368
	v_cvt_pk_fp8_f32 v104, v106, v107 op_sel:[0,0,1]           // 000000009F88: D2A24068 0002D76A
	v_pk_mul_f32 v[140:141], v[4:5], v[140:141]                // 000000009F90: D3B1408C 18031904
	v_pk_mul_f32 v[142:143], v[4:5], v[142:143]                // 000000009F98: D3B1408E 18031D04
	v_cvt_pk_fp8_f32 v140, v140, v141                          // 000000009FA0: D2A2008C 00031B8C
	v_cvt_pk_fp8_f32 v140, v142, v143 op_sel:[0,0,1]           // 000000009FA8: D2A2408C 00031F8E
	v_rcp_f32_e32 v164, v164                                   // 000000009FB0: 7F4845A4
	v_mov_b32_e32 v165, 0x358637bd                             // 000000009FB4: 7F4A02FF 358637BD
	v_max3_f32 v165, |v108|, |v109|, v165                      // 000000009FBC: D1D303A5 0696DB6C
	v_max3_f32 v165, |v110|, |v111|, v165                      // 000000009FC4: D1D303A5 0696DF6E
	v_max3_f32 v165, |v144|, |v145|, v165                      // 000000009FCC: D1D303A5 06972390
	v_max3_f32 v165, |v146|, |v147|, v165                      // 000000009FD4: D1D303A5 06972792
	ds_write_b32 v169, v165                                    // 000000009FDC: D81A0000 0000A5A9
	s_waitcnt lgkmcnt(0)                                       // 000000009FE4: BF8CC07F
	s_barrier                                                  // 000000009FE8: BF8A0000
	ds_read_b32 v4, v170                                       // 000000009FEC: D86C0000 040000AA
	ds_read_b32 v5, v170 offset:64                             // 000000009FF4: D86C0040 050000AA
	ds_read_b32 v6, v170 offset:128                            // 000000009FFC: D86C0080 060000AA
	ds_read_b32 v7, v170 offset:192                            // 00000000A004: D86C00C0 070000AA
	ds_read_b32 v8, v170 offset:256                            // 00000000A00C: D86C0100 080000AA
	ds_read_b32 v9, v170 offset:320                            // 00000000A014: D86C0140 090000AA
	ds_read_b32 v10, v170 offset:384                           // 00000000A01C: D86C0180 0A0000AA
	ds_read_b32 v11, v170 offset:448                           // 00000000A024: D86C01C0 0B0000AA
	ds_read_b32 v12, v170 offset:512                           // 00000000A02C: D86C0200 0C0000AA
	ds_read_b32 v13, v170 offset:576                           // 00000000A034: D86C0240 0D0000AA
	ds_read_b32 v14, v170 offset:640                           // 00000000A03C: D86C0280 0E0000AA
	ds_read_b32 v15, v170 offset:704                           // 00000000A044: D86C02C0 0F0000AA
	ds_read_b32 v16, v170 offset:768                           // 00000000A04C: D86C0300 100000AA
	ds_read_b32 v17, v170 offset:832                           // 00000000A054: D86C0340 110000AA
	ds_read_b32 v18, v170 offset:896                           // 00000000A05C: D86C0380 120000AA
	ds_read_b32 v19, v170 offset:960                           // 00000000A064: D86C03C0 130000AA
	s_waitcnt lgkmcnt(0)                                       // 00000000A06C: BF8CC07F
	s_barrier                                                  // 00000000A070: BF8A0000
	v_max3_f32 v165, |v4|, |v5|, v165                          // 00000000A074: D1D303A5 06960B04
	v_max3_f32 v165, |v6|, |v7|, v165                          // 00000000A07C: D1D303A5 06960F06
	v_max3_f32 v165, |v8|, |v9|, v165                          // 00000000A084: D1D303A5 06961308
	v_max3_f32 v165, |v10|, |v11|, v165                        // 00000000A08C: D1D303A5 0696170A
	v_max3_f32 v165, |v12|, |v13|, v165                        // 00000000A094: D1D303A5 06961B0C
	v_max3_f32 v165, |v14|, |v15|, v165                        // 00000000A09C: D1D303A5 06961F0E
	v_max3_f32 v165, |v16|, |v17|, v165                        // 00000000A0A4: D1D303A5 06962310
	v_max3_f32 v165, |v18|, |v19|, v165                        // 00000000A0AC: D1D303A5 06962712
	v_rcp_f32_e32 v165, v165                                   // 00000000A0B4: 7F4A45A5
	v_mov_b32_e32 v4, 0x43700000                               // 00000000A0B8: 7E0802FF 43700000
	v_mul_f32_e32 v165, v4, v165                               // 00000000A0C0: 0B4B4B04
	v_mov_b32_e32 v4, v165                                     // 00000000A0C4: 7E0803A5
	v_mov_b32_e32 v5, v4                                       // 00000000A0C8: 7E0A0304
	v_pk_mul_f32 v[108:109], v[4:5], v[108:109]                // 00000000A0CC: D3B1406C 1802D904
	v_pk_mul_f32 v[110:111], v[4:5], v[110:111]                // 00000000A0D4: D3B1406E 1802DD04
	v_cvt_pk_fp8_f32 v108, v108, v109                          // 00000000A0DC: D2A2006C 0002DB6C
	v_cvt_pk_fp8_f32 v108, v110, v111 op_sel:[0,0,1]           // 00000000A0E4: D2A2406C 0002DF6E
	v_pk_mul_f32 v[144:145], v[4:5], v[144:145]                // 00000000A0EC: D3B14090 18032104
	v_pk_mul_f32 v[146:147], v[4:5], v[146:147]                // 00000000A0F4: D3B14092 18032504
	v_cvt_pk_fp8_f32 v144, v144, v145                          // 00000000A0FC: D2A20090 00032390
	v_cvt_pk_fp8_f32 v144, v146, v147 op_sel:[0,0,1]           // 00000000A104: D2A24090 00032792
	v_rcp_f32_e32 v165, v165                                   // 00000000A10C: 7F4A45A5
	v_mov_b32_e32 v166, 0x358637bd                             // 00000000A110: 7F4C02FF 358637BD
	v_max3_f32 v166, |v112|, |v113|, v166                      // 00000000A118: D1D303A6 069AE370
	v_max3_f32 v166, |v114|, |v115|, v166                      // 00000000A120: D1D303A6 069AE772
	v_max3_f32 v166, |v148|, |v149|, v166                      // 00000000A128: D1D303A6 069B2B94
	v_max3_f32 v166, |v150|, |v151|, v166                      // 00000000A130: D1D303A6 069B2F96
	ds_write_b32 v169, v166                                    // 00000000A138: D81A0000 0000A6A9
	s_waitcnt lgkmcnt(0)                                       // 00000000A140: BF8CC07F
	s_barrier                                                  // 00000000A144: BF8A0000
	ds_read_b32 v4, v170                                       // 00000000A148: D86C0000 040000AA
	ds_read_b32 v5, v170 offset:64                             // 00000000A150: D86C0040 050000AA
	ds_read_b32 v6, v170 offset:128                            // 00000000A158: D86C0080 060000AA
	ds_read_b32 v7, v170 offset:192                            // 00000000A160: D86C00C0 070000AA
	ds_read_b32 v8, v170 offset:256                            // 00000000A168: D86C0100 080000AA
	ds_read_b32 v9, v170 offset:320                            // 00000000A170: D86C0140 090000AA
	ds_read_b32 v10, v170 offset:384                           // 00000000A178: D86C0180 0A0000AA
	ds_read_b32 v11, v170 offset:448                           // 00000000A180: D86C01C0 0B0000AA
	ds_read_b32 v12, v170 offset:512                           // 00000000A188: D86C0200 0C0000AA
	ds_read_b32 v13, v170 offset:576                           // 00000000A190: D86C0240 0D0000AA
	ds_read_b32 v14, v170 offset:640                           // 00000000A198: D86C0280 0E0000AA
	ds_read_b32 v15, v170 offset:704                           // 00000000A1A0: D86C02C0 0F0000AA
	ds_read_b32 v16, v170 offset:768                           // 00000000A1A8: D86C0300 100000AA
	ds_read_b32 v17, v170 offset:832                           // 00000000A1B0: D86C0340 110000AA
	ds_read_b32 v18, v170 offset:896                           // 00000000A1B8: D86C0380 120000AA
	ds_read_b32 v19, v170 offset:960                           // 00000000A1C0: D86C03C0 130000AA
	s_waitcnt lgkmcnt(0)                                       // 00000000A1C8: BF8CC07F
	s_barrier                                                  // 00000000A1CC: BF8A0000
	v_max3_f32 v166, |v4|, |v5|, v166                          // 00000000A1D0: D1D303A6 069A0B04
	v_max3_f32 v166, |v6|, |v7|, v166                          // 00000000A1D8: D1D303A6 069A0F06
	v_max3_f32 v166, |v8|, |v9|, v166                          // 00000000A1E0: D1D303A6 069A1308
	v_max3_f32 v166, |v10|, |v11|, v166                        // 00000000A1E8: D1D303A6 069A170A
	v_max3_f32 v166, |v12|, |v13|, v166                        // 00000000A1F0: D1D303A6 069A1B0C
	v_max3_f32 v166, |v14|, |v15|, v166                        // 00000000A1F8: D1D303A6 069A1F0E
	v_max3_f32 v166, |v16|, |v17|, v166                        // 00000000A200: D1D303A6 069A2310
	v_max3_f32 v166, |v18|, |v19|, v166                        // 00000000A208: D1D303A6 069A2712
	v_rcp_f32_e32 v166, v166                                   // 00000000A210: 7F4C45A6
	v_mov_b32_e32 v4, 0x43700000                               // 00000000A214: 7E0802FF 43700000
	v_mul_f32_e32 v166, v4, v166                               // 00000000A21C: 0B4D4D04
	v_mov_b32_e32 v4, v166                                     // 00000000A220: 7E0803A6
	v_mov_b32_e32 v5, v4                                       // 00000000A224: 7E0A0304
	v_pk_mul_f32 v[112:113], v[4:5], v[112:113]                // 00000000A228: D3B14070 1802E104
	v_pk_mul_f32 v[114:115], v[4:5], v[114:115]                // 00000000A230: D3B14072 1802E504
	v_cvt_pk_fp8_f32 v112, v112, v113                          // 00000000A238: D2A20070 0002E370
	v_cvt_pk_fp8_f32 v112, v114, v115 op_sel:[0,0,1]           // 00000000A240: D2A24070 0002E772
	v_pk_mul_f32 v[148:149], v[4:5], v[148:149]                // 00000000A248: D3B14094 18032904
	v_pk_mul_f32 v[150:151], v[4:5], v[150:151]                // 00000000A250: D3B14096 18032D04
	v_cvt_pk_fp8_f32 v148, v148, v149                          // 00000000A258: D2A20094 00032B94
	v_cvt_pk_fp8_f32 v148, v150, v151 op_sel:[0,0,1]           // 00000000A260: D2A24094 00032F96
	v_rcp_f32_e32 v166, v166                                   // 00000000A268: 7F4C45A6
	v_mov_b32_e32 v167, 0x358637bd                             // 00000000A26C: 7F4E02FF 358637BD
	v_max3_f32 v167, |v116|, |v117|, v167                      // 00000000A274: D1D303A7 069EEB74
	v_max3_f32 v167, |v118|, |v119|, v167                      // 00000000A27C: D1D303A7 069EEF76
	v_max3_f32 v167, |v152|, |v153|, v167                      // 00000000A284: D1D303A7 069F3398
	v_max3_f32 v167, |v154|, |v155|, v167                      // 00000000A28C: D1D303A7 069F379A
	ds_write_b32 v169, v167                                    // 00000000A294: D81A0000 0000A7A9
	s_waitcnt lgkmcnt(0)                                       // 00000000A29C: BF8CC07F
	s_barrier                                                  // 00000000A2A0: BF8A0000
	ds_read_b32 v4, v170                                       // 00000000A2A4: D86C0000 040000AA
	ds_read_b32 v5, v170 offset:64                             // 00000000A2AC: D86C0040 050000AA
	ds_read_b32 v6, v170 offset:128                            // 00000000A2B4: D86C0080 060000AA
	ds_read_b32 v7, v170 offset:192                            // 00000000A2BC: D86C00C0 070000AA
	ds_read_b32 v8, v170 offset:256                            // 00000000A2C4: D86C0100 080000AA
	ds_read_b32 v9, v170 offset:320                            // 00000000A2CC: D86C0140 090000AA
	ds_read_b32 v10, v170 offset:384                           // 00000000A2D4: D86C0180 0A0000AA
	ds_read_b32 v11, v170 offset:448                           // 00000000A2DC: D86C01C0 0B0000AA
	ds_read_b32 v12, v170 offset:512                           // 00000000A2E4: D86C0200 0C0000AA
	ds_read_b32 v13, v170 offset:576                           // 00000000A2EC: D86C0240 0D0000AA
	ds_read_b32 v14, v170 offset:640                           // 00000000A2F4: D86C0280 0E0000AA
	ds_read_b32 v15, v170 offset:704                           // 00000000A2FC: D86C02C0 0F0000AA
	ds_read_b32 v16, v170 offset:768                           // 00000000A304: D86C0300 100000AA
	ds_read_b32 v17, v170 offset:832                           // 00000000A30C: D86C0340 110000AA
	ds_read_b32 v18, v170 offset:896                           // 00000000A314: D86C0380 120000AA
	ds_read_b32 v19, v170 offset:960                           // 00000000A31C: D86C03C0 130000AA
	s_waitcnt lgkmcnt(0)                                       // 00000000A324: BF8CC07F
	s_barrier                                                  // 00000000A328: BF8A0000
	v_max3_f32 v167, |v4|, |v5|, v167                          // 00000000A32C: D1D303A7 069E0B04
	v_max3_f32 v167, |v6|, |v7|, v167                          // 00000000A334: D1D303A7 069E0F06
	v_max3_f32 v167, |v8|, |v9|, v167                          // 00000000A33C: D1D303A7 069E1308
	v_max3_f32 v167, |v10|, |v11|, v167                        // 00000000A344: D1D303A7 069E170A
	v_max3_f32 v167, |v12|, |v13|, v167                        // 00000000A34C: D1D303A7 069E1B0C
	v_max3_f32 v167, |v14|, |v15|, v167                        // 00000000A354: D1D303A7 069E1F0E
	v_max3_f32 v167, |v16|, |v17|, v167                        // 00000000A35C: D1D303A7 069E2310
	v_max3_f32 v167, |v18|, |v19|, v167                        // 00000000A364: D1D303A7 069E2712
	v_rcp_f32_e32 v167, v167                                   // 00000000A36C: 7F4E45A7
	v_mov_b32_e32 v4, 0x43700000                               // 00000000A370: 7E0802FF 43700000
	v_mul_f32_e32 v167, v4, v167                               // 00000000A378: 0B4F4F04
	v_mov_b32_e32 v4, v167                                     // 00000000A37C: 7E0803A7
	v_mov_b32_e32 v5, v4                                       // 00000000A380: 7E0A0304
	v_pk_mul_f32 v[116:117], v[4:5], v[116:117]                // 00000000A384: D3B14074 1802E904
	v_pk_mul_f32 v[118:119], v[4:5], v[118:119]                // 00000000A38C: D3B14076 1802ED04
	v_cvt_pk_fp8_f32 v116, v116, v117                          // 00000000A394: D2A20074 0002EB74
	v_cvt_pk_fp8_f32 v116, v118, v119 op_sel:[0,0,1]           // 00000000A39C: D2A24074 0002EF76
	v_pk_mul_f32 v[152:153], v[4:5], v[152:153]                // 00000000A3A4: D3B14098 18033104
	v_pk_mul_f32 v[154:155], v[4:5], v[154:155]                // 00000000A3AC: D3B1409A 18033504
	v_cvt_pk_fp8_f32 v152, v152, v153                          // 00000000A3B4: D2A20098 00033398
	v_cvt_pk_fp8_f32 v152, v154, v155 op_sel:[0,0,1]           // 00000000A3BC: D2A24098 0003379A
	v_rcp_f32_e32 v167, v167                                   // 00000000A3C4: 7F4E45A7
	v_mov_b32_e32 v168, 0x358637bd                             // 00000000A3C8: 7F5002FF 358637BD
	v_max3_f32 v168, |v120|, |v121|, v168                      // 00000000A3D0: D1D303A8 06A2F378
	v_max3_f32 v168, |v122|, |v123|, v168                      // 00000000A3D8: D1D303A8 06A2F77A
	v_max3_f32 v168, |v156|, |v157|, v168                      // 00000000A3E0: D1D303A8 06A33B9C
	v_max3_f32 v168, |v158|, |v159|, v168                      // 00000000A3E8: D1D303A8 06A33F9E
	ds_write_b32 v169, v168                                    // 00000000A3F0: D81A0000 0000A8A9
	s_waitcnt lgkmcnt(0)                                       // 00000000A3F8: BF8CC07F
	s_barrier                                                  // 00000000A3FC: BF8A0000
	ds_read_b32 v4, v170                                       // 00000000A400: D86C0000 040000AA
	ds_read_b32 v5, v170 offset:64                             // 00000000A408: D86C0040 050000AA
	ds_read_b32 v6, v170 offset:128                            // 00000000A410: D86C0080 060000AA
	ds_read_b32 v7, v170 offset:192                            // 00000000A418: D86C00C0 070000AA
	ds_read_b32 v8, v170 offset:256                            // 00000000A420: D86C0100 080000AA
	ds_read_b32 v9, v170 offset:320                            // 00000000A428: D86C0140 090000AA
	ds_read_b32 v10, v170 offset:384                           // 00000000A430: D86C0180 0A0000AA
	ds_read_b32 v11, v170 offset:448                           // 00000000A438: D86C01C0 0B0000AA
	ds_read_b32 v12, v170 offset:512                           // 00000000A440: D86C0200 0C0000AA
	ds_read_b32 v13, v170 offset:576                           // 00000000A448: D86C0240 0D0000AA
	ds_read_b32 v14, v170 offset:640                           // 00000000A450: D86C0280 0E0000AA
	ds_read_b32 v15, v170 offset:704                           // 00000000A458: D86C02C0 0F0000AA
	ds_read_b32 v16, v170 offset:768                           // 00000000A460: D86C0300 100000AA
	ds_read_b32 v17, v170 offset:832                           // 00000000A468: D86C0340 110000AA
	ds_read_b32 v18, v170 offset:896                           // 00000000A470: D86C0380 120000AA
	ds_read_b32 v19, v170 offset:960                           // 00000000A478: D86C03C0 130000AA
	s_waitcnt lgkmcnt(0)                                       // 00000000A480: BF8CC07F
	s_barrier                                                  // 00000000A484: BF8A0000
	v_max3_f32 v168, |v4|, |v5|, v168                          // 00000000A488: D1D303A8 06A20B04
	v_max3_f32 v168, |v6|, |v7|, v168                          // 00000000A490: D1D303A8 06A20F06
	v_max3_f32 v168, |v8|, |v9|, v168                          // 00000000A498: D1D303A8 06A21308
	v_max3_f32 v168, |v10|, |v11|, v168                        // 00000000A4A0: D1D303A8 06A2170A
	v_max3_f32 v168, |v12|, |v13|, v168                        // 00000000A4A8: D1D303A8 06A21B0C
	v_max3_f32 v168, |v14|, |v15|, v168                        // 00000000A4B0: D1D303A8 06A21F0E
	v_max3_f32 v168, |v16|, |v17|, v168                        // 00000000A4B8: D1D303A8 06A22310
	v_max3_f32 v168, |v18|, |v19|, v168                        // 00000000A4C0: D1D303A8 06A22712
	v_rcp_f32_e32 v168, v168                                   // 00000000A4C8: 7F5045A8
	v_mov_b32_e32 v4, 0x43700000                               // 00000000A4CC: 7E0802FF 43700000
	v_mul_f32_e32 v168, v4, v168                               // 00000000A4D4: 0B515104
	v_mov_b32_e32 v4, v168                                     // 00000000A4D8: 7E0803A8
	v_mov_b32_e32 v5, v4                                       // 00000000A4DC: 7E0A0304
	v_pk_mul_f32 v[120:121], v[4:5], v[120:121]                // 00000000A4E0: D3B14078 1802F104
	v_pk_mul_f32 v[122:123], v[4:5], v[122:123]                // 00000000A4E8: D3B1407A 1802F504
	v_cvt_pk_fp8_f32 v120, v120, v121                          // 00000000A4F0: D2A20078 0002F378
	v_cvt_pk_fp8_f32 v120, v122, v123 op_sel:[0,0,1]           // 00000000A4F8: D2A24078 0002F77A
	v_pk_mul_f32 v[156:157], v[4:5], v[156:157]                // 00000000A500: D3B1409C 18033904
	v_pk_mul_f32 v[158:159], v[4:5], v[158:159]                // 00000000A508: D3B1409E 18033D04
	v_cvt_pk_fp8_f32 v156, v156, v157                          // 00000000A510: D2A2009C 00033B9C
	v_cvt_pk_fp8_f32 v156, v158, v159 op_sel:[0,0,1]           // 00000000A518: D2A2409C 00033F9E
	v_rcp_f32_e32 v168, v168                                   // 00000000A520: 7F5045A8
	v_lshrrev_b32_e32 v4, 5, v0                                // 00000000A524: 20080085
	v_mul_lo_u32 v20, 34, v4                                   // 00000000A528: D2850014 000208A2
	v_and_b32_e32 v4, 31, v0                                   // 00000000A530: 2608009F
	v_lshrrev_b32_e32 v5, 4, v4                                // 00000000A534: 200A0884
	v_add_u32_e32 v20, v5, v20                                 // 00000000A538: 68282905
	v_and_b32_e32 v4, 15, v0                                   // 00000000A53C: 2608008F
	v_mul_lo_u32 v5, 2, v4                                     // 00000000A540: D2850005 00020882
	v_add_u32_e32 v20, v5, v20                                 // 00000000A548: 68282905
	s_mul_i32 s60, s7, 0x44                                    // 00000000A54C: 923CFF07 00000044
	v_add_u32_e32 v20, s60, v20                                // 00000000A554: 6828283C
	v_lshlrev_b32_e32 v20, 2, v20                              // 00000000A558: 24282882
	ds_write_b32 v20, v88                                      // 00000000A55C: D81A0000 00005814
	ds_write_b32 v20, v92 offset:2176                          // 00000000A564: D81A0880 00005C14
	ds_write_b32 v20, v96 offset:4352                          // 00000000A56C: D81A1100 00006014
	ds_write_b32 v20, v100 offset:6528                         // 00000000A574: D81A1980 00006414
	ds_write_b32 v20, v104 offset:8704                         // 00000000A57C: D81A2200 00006814
	ds_write_b32 v20, v108 offset:10880                        // 00000000A584: D81A2A80 00006C14
	ds_write_b32 v20, v112 offset:13056                        // 00000000A58C: D81A3300 00007014
	ds_write_b32 v20, v116 offset:15232                        // 00000000A594: D81A3B80 00007414
	ds_write_b32 v20, v120 offset:17408                        // 00000000A59C: D81A4400 00007814
	ds_write_b32 v20, v124 offset:1088                         // 00000000A5A4: D81A0440 00007C14
	ds_write_b32 v20, v128 offset:3264                         // 00000000A5AC: D81A0CC0 00008014
	ds_write_b32 v20, v132 offset:5440                         // 00000000A5B4: D81A1540 00008414
	ds_write_b32 v20, v136 offset:7616                         // 00000000A5BC: D81A1DC0 00008814
	ds_write_b32 v20, v140 offset:9792                         // 00000000A5C4: D81A2640 00008C14
	ds_write_b32 v20, v144 offset:11968                        // 00000000A5CC: D81A2EC0 00009014
	ds_write_b32 v20, v148 offset:14144                        // 00000000A5D4: D81A3740 00009414
	ds_write_b32 v20, v152 offset:16320                        // 00000000A5DC: D81A3FC0 00009814
	ds_write_b32 v20, v156 offset:18496                        // 00000000A5E4: D81A4840 00009C14
	v_lshrrev_b32_e32 v4, 5, v0                                // 00000000A5EC: 20080085
	v_xor_b32_e32 v5, 1, v4                                    // 00000000A5F0: 2A0A0881
	s_mul_i32 s60, s65, 1                                      // 00000000A5F4: 923C8141
	s_cmp_eq_u32 s88, 0                                        // 00000000A5F8: BF068058
	s_cselect_b32 s61, 1, 8                                    // 00000000A5FC: 853D8881
	s_mul_i32 s60, s61, s60                                    // 00000000A600: 923C3C3D
	v_readlane_b32 s82, v3, 0                                  // 00000000A604: D2890052 00010103
	s_lshr_b32 s61, s82, 24                                    // 00000000A60C: 8F3D9852
	s_and_b32 s82, s82, 0xffffff                               // 00000000A610: 8652FF52 00FFFFFF
	s_mul_i32 s82, s82, s71                                    // 00000000A618: 92524752
	s_mul_i32 s61, s60, s61                                    // 00000000A61C: 923D3D3C
	s_add_u32 s82, s82, s61                                    // 00000000A620: 80523D52
	v_mul_lo_u32 v6, v5, s82                                   // 00000000A624: D2850006 0000A505
	v_readlane_b32 s82, v3, 1                                  // 00000000A62C: D2890052 00010303
	s_lshr_b32 s61, s82, 24                                    // 00000000A634: 8F3D9852
	s_and_b32 s82, s82, 0xffffff                               // 00000000A638: 8652FF52 00FFFFFF
	s_mul_i32 s82, s82, s71                                    // 00000000A640: 92524752
	s_mul_i32 s61, s60, s61                                    // 00000000A644: 923D3D3C
	s_add_u32 s82, s82, s61                                    // 00000000A648: 80523D52
	v_mul_lo_u32 v7, v4, s82                                   // 00000000A64C: D2850007 0000A504
	v_add_u32_e32 v66, v6, v7                                  // 00000000A654: 68840F06
	v_readlane_b32 s82, v3, 2                                  // 00000000A658: D2890052 00010503
	s_lshr_b32 s61, s82, 24                                    // 00000000A660: 8F3D9852
	s_and_b32 s82, s82, 0xffffff                               // 00000000A664: 8652FF52 00FFFFFF
	s_mul_i32 s82, s82, s71                                    // 00000000A66C: 92524752
	s_mul_i32 s61, s60, s61                                    // 00000000A670: 923D3D3C
	s_add_u32 s82, s82, s61                                    // 00000000A674: 80523D52
	v_mul_lo_u32 v6, v5, s82                                   // 00000000A678: D2850006 0000A505
	v_readlane_b32 s82, v3, 3                                  // 00000000A680: D2890052 00010703
	s_lshr_b32 s61, s82, 24                                    // 00000000A688: 8F3D9852
	s_and_b32 s82, s82, 0xffffff                               // 00000000A68C: 8652FF52 00FFFFFF
	s_mul_i32 s82, s82, s71                                    // 00000000A694: 92524752
	s_mul_i32 s61, s60, s61                                    // 00000000A698: 923D3D3C
	s_add_u32 s82, s82, s61                                    // 00000000A69C: 80523D52
	v_mul_lo_u32 v7, v4, s82                                   // 00000000A6A0: D2850007 0000A504
	v_add_u32_e32 v67, v6, v7                                  // 00000000A6A8: 68860F06
	v_readlane_b32 s82, v3, 4                                  // 00000000A6AC: D2890052 00010903
	s_lshr_b32 s61, s82, 24                                    // 00000000A6B4: 8F3D9852
	s_and_b32 s82, s82, 0xffffff                               // 00000000A6B8: 8652FF52 00FFFFFF
	s_mul_i32 s82, s82, s71                                    // 00000000A6C0: 92524752
	s_mul_i32 s61, s60, s61                                    // 00000000A6C4: 923D3D3C
	s_add_u32 s82, s82, s61                                    // 00000000A6C8: 80523D52
	v_mul_lo_u32 v6, v5, s82                                   // 00000000A6CC: D2850006 0000A505
	v_readlane_b32 s82, v3, 5                                  // 00000000A6D4: D2890052 00010B03
	s_lshr_b32 s61, s82, 24                                    // 00000000A6DC: 8F3D9852
	s_and_b32 s82, s82, 0xffffff                               // 00000000A6E0: 8652FF52 00FFFFFF
	s_mul_i32 s82, s82, s71                                    // 00000000A6E8: 92524752
	s_mul_i32 s61, s60, s61                                    // 00000000A6EC: 923D3D3C
	s_add_u32 s82, s82, s61                                    // 00000000A6F0: 80523D52
	v_mul_lo_u32 v7, v4, s82                                   // 00000000A6F4: D2850007 0000A504
	v_add_u32_e32 v68, v6, v7                                  // 00000000A6FC: 68880F06
	v_readlane_b32 s82, v3, 6                                  // 00000000A700: D2890052 00010D03
	s_lshr_b32 s61, s82, 24                                    // 00000000A708: 8F3D9852
	s_and_b32 s82, s82, 0xffffff                               // 00000000A70C: 8652FF52 00FFFFFF
	s_mul_i32 s82, s82, s71                                    // 00000000A714: 92524752
	s_mul_i32 s61, s60, s61                                    // 00000000A718: 923D3D3C
	s_add_u32 s82, s82, s61                                    // 00000000A71C: 80523D52
	v_mul_lo_u32 v6, v5, s82                                   // 00000000A720: D2850006 0000A505
	v_readlane_b32 s82, v3, 7                                  // 00000000A728: D2890052 00010F03
	s_lshr_b32 s61, s82, 24                                    // 00000000A730: 8F3D9852
	s_and_b32 s82, s82, 0xffffff                               // 00000000A734: 8652FF52 00FFFFFF
	s_mul_i32 s82, s82, s71                                    // 00000000A73C: 92524752
	s_mul_i32 s61, s60, s61                                    // 00000000A740: 923D3D3C
	s_add_u32 s82, s82, s61                                    // 00000000A744: 80523D52
	v_mul_lo_u32 v7, v4, s82                                   // 00000000A748: D2850007 0000A504
	v_add_u32_e32 v69, v6, v7                                  // 00000000A750: 688A0F06
	v_readlane_b32 s82, v3, 8                                  // 00000000A754: D2890052 00011103
	s_lshr_b32 s61, s82, 24                                    // 00000000A75C: 8F3D9852
	s_and_b32 s82, s82, 0xffffff                               // 00000000A760: 8652FF52 00FFFFFF
	s_mul_i32 s82, s82, s71                                    // 00000000A768: 92524752
	s_mul_i32 s61, s60, s61                                    // 00000000A76C: 923D3D3C
	s_add_u32 s82, s82, s61                                    // 00000000A770: 80523D52
	v_mul_lo_u32 v6, v5, s82                                   // 00000000A774: D2850006 0000A505
	v_readlane_b32 s82, v3, 9                                  // 00000000A77C: D2890052 00011303
	s_lshr_b32 s61, s82, 24                                    // 00000000A784: 8F3D9852
	s_and_b32 s82, s82, 0xffffff                               // 00000000A788: 8652FF52 00FFFFFF
	s_mul_i32 s82, s82, s71                                    // 00000000A790: 92524752
	s_mul_i32 s61, s60, s61                                    // 00000000A794: 923D3D3C
	s_add_u32 s82, s82, s61                                    // 00000000A798: 80523D52
	v_mul_lo_u32 v7, v4, s82                                   // 00000000A79C: D2850007 0000A504
	v_add_u32_e32 v70, v6, v7                                  // 00000000A7A4: 688C0F06
	v_readlane_b32 s82, v3, 10                                 // 00000000A7A8: D2890052 00011503
	s_lshr_b32 s61, s82, 24                                    // 00000000A7B0: 8F3D9852
	s_and_b32 s82, s82, 0xffffff                               // 00000000A7B4: 8652FF52 00FFFFFF
	s_mul_i32 s82, s82, s71                                    // 00000000A7BC: 92524752
	s_mul_i32 s61, s60, s61                                    // 00000000A7C0: 923D3D3C
	s_add_u32 s82, s82, s61                                    // 00000000A7C4: 80523D52
	v_mul_lo_u32 v6, v5, s82                                   // 00000000A7C8: D2850006 0000A505
	v_readlane_b32 s82, v3, 11                                 // 00000000A7D0: D2890052 00011703
	s_lshr_b32 s61, s82, 24                                    // 00000000A7D8: 8F3D9852
	s_and_b32 s82, s82, 0xffffff                               // 00000000A7DC: 8652FF52 00FFFFFF
	s_mul_i32 s82, s82, s71                                    // 00000000A7E4: 92524752
	s_mul_i32 s61, s60, s61                                    // 00000000A7E8: 923D3D3C
	s_add_u32 s82, s82, s61                                    // 00000000A7EC: 80523D52
	v_mul_lo_u32 v7, v4, s82                                   // 00000000A7F0: D2850007 0000A504
	v_add_u32_e32 v71, v6, v7                                  // 00000000A7F8: 688E0F06
	v_readlane_b32 s82, v3, 12                                 // 00000000A7FC: D2890052 00011903
	s_lshr_b32 s61, s82, 24                                    // 00000000A804: 8F3D9852
	s_and_b32 s82, s82, 0xffffff                               // 00000000A808: 8652FF52 00FFFFFF
	s_mul_i32 s82, s82, s71                                    // 00000000A810: 92524752
	s_mul_i32 s61, s60, s61                                    // 00000000A814: 923D3D3C
	s_add_u32 s82, s82, s61                                    // 00000000A818: 80523D52
	v_mul_lo_u32 v6, v5, s82                                   // 00000000A81C: D2850006 0000A505
	v_readlane_b32 s82, v3, 13                                 // 00000000A824: D2890052 00011B03
	s_lshr_b32 s61, s82, 24                                    // 00000000A82C: 8F3D9852
	s_and_b32 s82, s82, 0xffffff                               // 00000000A830: 8652FF52 00FFFFFF
	s_mul_i32 s82, s82, s71                                    // 00000000A838: 92524752
	s_mul_i32 s61, s60, s61                                    // 00000000A83C: 923D3D3C
	s_add_u32 s82, s82, s61                                    // 00000000A840: 80523D52
	v_mul_lo_u32 v7, v4, s82                                   // 00000000A844: D2850007 0000A504
	v_add_u32_e32 v72, v6, v7                                  // 00000000A84C: 68900F06
	v_readlane_b32 s82, v3, 14                                 // 00000000A850: D2890052 00011D03
	s_lshr_b32 s61, s82, 24                                    // 00000000A858: 8F3D9852
	s_and_b32 s82, s82, 0xffffff                               // 00000000A85C: 8652FF52 00FFFFFF
	s_mul_i32 s82, s82, s71                                    // 00000000A864: 92524752
	s_mul_i32 s61, s60, s61                                    // 00000000A868: 923D3D3C
	s_add_u32 s82, s82, s61                                    // 00000000A86C: 80523D52
	v_mul_lo_u32 v6, v5, s82                                   // 00000000A870: D2850006 0000A505
	v_readlane_b32 s82, v3, 15                                 // 00000000A878: D2890052 00011F03
	s_lshr_b32 s61, s82, 24                                    // 00000000A880: 8F3D9852
	s_and_b32 s82, s82, 0xffffff                               // 00000000A884: 8652FF52 00FFFFFF
	s_mul_i32 s82, s82, s71                                    // 00000000A88C: 92524752
	s_mul_i32 s61, s60, s61                                    // 00000000A890: 923D3D3C
	s_add_u32 s82, s82, s61                                    // 00000000A894: 80523D52
	v_mul_lo_u32 v7, v4, s82                                   // 00000000A898: D2850007 0000A504
	v_add_u32_e32 v73, v6, v7                                  // 00000000A8A0: 68920F06
	v_readlane_b32 s82, v3, 16                                 // 00000000A8A4: D2890052 00012103
	s_lshr_b32 s61, s82, 24                                    // 00000000A8AC: 8F3D9852
	s_and_b32 s82, s82, 0xffffff                               // 00000000A8B0: 8652FF52 00FFFFFF
	s_mul_i32 s82, s82, s71                                    // 00000000A8B8: 92524752
	s_mul_i32 s61, s60, s61                                    // 00000000A8BC: 923D3D3C
	s_add_u32 s82, s82, s61                                    // 00000000A8C0: 80523D52
	v_mul_lo_u32 v6, v5, s82                                   // 00000000A8C4: D2850006 0000A505
	v_readlane_b32 s82, v3, 17                                 // 00000000A8CC: D2890052 00012303
	s_lshr_b32 s61, s82, 24                                    // 00000000A8D4: 8F3D9852
	s_and_b32 s82, s82, 0xffffff                               // 00000000A8D8: 8652FF52 00FFFFFF
	s_mul_i32 s82, s82, s71                                    // 00000000A8E0: 92524752
	s_mul_i32 s61, s60, s61                                    // 00000000A8E4: 923D3D3C
	s_add_u32 s82, s82, s61                                    // 00000000A8E8: 80523D52
	v_mul_lo_u32 v7, v4, s82                                   // 00000000A8EC: D2850007 0000A504
	v_add_u32_e32 v74, v6, v7                                  // 00000000A8F4: 68940F06
	v_readlane_b32 s82, v3, 18                                 // 00000000A8F8: D2890052 00012503
	s_lshr_b32 s61, s82, 24                                    // 00000000A900: 8F3D9852
	s_and_b32 s82, s82, 0xffffff                               // 00000000A904: 8652FF52 00FFFFFF
	s_mul_i32 s82, s82, s71                                    // 00000000A90C: 92524752
	s_mul_i32 s61, s60, s61                                    // 00000000A910: 923D3D3C
	s_add_u32 s82, s82, s61                                    // 00000000A914: 80523D52
	v_mul_lo_u32 v6, v5, s82                                   // 00000000A918: D2850006 0000A505
	v_readlane_b32 s82, v3, 19                                 // 00000000A920: D2890052 00012703
	s_lshr_b32 s61, s82, 24                                    // 00000000A928: 8F3D9852
	s_and_b32 s82, s82, 0xffffff                               // 00000000A92C: 8652FF52 00FFFFFF
	s_mul_i32 s82, s82, s71                                    // 00000000A934: 92524752
	s_mul_i32 s61, s60, s61                                    // 00000000A938: 923D3D3C
	s_add_u32 s82, s82, s61                                    // 00000000A93C: 80523D52
	v_mul_lo_u32 v7, v4, s82                                   // 00000000A940: D2850007 0000A504
	v_add_u32_e32 v75, v6, v7                                  // 00000000A948: 68960F06
	v_readlane_b32 s82, v3, 20                                 // 00000000A94C: D2890052 00012903
	s_lshr_b32 s61, s82, 24                                    // 00000000A954: 8F3D9852
	s_and_b32 s82, s82, 0xffffff                               // 00000000A958: 8652FF52 00FFFFFF
	s_mul_i32 s82, s82, s71                                    // 00000000A960: 92524752
	s_mul_i32 s61, s60, s61                                    // 00000000A964: 923D3D3C
	s_add_u32 s82, s82, s61                                    // 00000000A968: 80523D52
	v_mul_lo_u32 v6, v5, s82                                   // 00000000A96C: D2850006 0000A505
	v_readlane_b32 s82, v3, 21                                 // 00000000A974: D2890052 00012B03
	s_lshr_b32 s61, s82, 24                                    // 00000000A97C: 8F3D9852
	s_and_b32 s82, s82, 0xffffff                               // 00000000A980: 8652FF52 00FFFFFF
	s_mul_i32 s82, s82, s71                                    // 00000000A988: 92524752
	s_mul_i32 s61, s60, s61                                    // 00000000A98C: 923D3D3C
	s_add_u32 s82, s82, s61                                    // 00000000A990: 80523D52
	v_mul_lo_u32 v7, v4, s82                                   // 00000000A994: D2850007 0000A504
	v_add_u32_e32 v76, v6, v7                                  // 00000000A99C: 68980F06
	v_readlane_b32 s82, v3, 22                                 // 00000000A9A0: D2890052 00012D03
	s_lshr_b32 s61, s82, 24                                    // 00000000A9A8: 8F3D9852
	s_and_b32 s82, s82, 0xffffff                               // 00000000A9AC: 8652FF52 00FFFFFF
	s_mul_i32 s82, s82, s71                                    // 00000000A9B4: 92524752
	s_mul_i32 s61, s60, s61                                    // 00000000A9B8: 923D3D3C
	s_add_u32 s82, s82, s61                                    // 00000000A9BC: 80523D52
	v_mul_lo_u32 v6, v5, s82                                   // 00000000A9C0: D2850006 0000A505
	v_readlane_b32 s82, v3, 23                                 // 00000000A9C8: D2890052 00012F03
	s_lshr_b32 s61, s82, 24                                    // 00000000A9D0: 8F3D9852
	s_and_b32 s82, s82, 0xffffff                               // 00000000A9D4: 8652FF52 00FFFFFF
	s_mul_i32 s82, s82, s71                                    // 00000000A9DC: 92524752
	s_mul_i32 s61, s60, s61                                    // 00000000A9E0: 923D3D3C
	s_add_u32 s82, s82, s61                                    // 00000000A9E4: 80523D52
	v_mul_lo_u32 v7, v4, s82                                   // 00000000A9E8: D2850007 0000A504
	v_add_u32_e32 v77, v6, v7                                  // 00000000A9F0: 689A0F06
	v_readlane_b32 s82, v3, 24                                 // 00000000A9F4: D2890052 00013103
	s_lshr_b32 s61, s82, 24                                    // 00000000A9FC: 8F3D9852
	s_and_b32 s82, s82, 0xffffff                               // 00000000AA00: 8652FF52 00FFFFFF
	s_mul_i32 s82, s82, s71                                    // 00000000AA08: 92524752
	s_mul_i32 s61, s60, s61                                    // 00000000AA0C: 923D3D3C
	s_add_u32 s82, s82, s61                                    // 00000000AA10: 80523D52
	v_mul_lo_u32 v6, v5, s82                                   // 00000000AA14: D2850006 0000A505
	v_readlane_b32 s82, v3, 25                                 // 00000000AA1C: D2890052 00013303
	s_lshr_b32 s61, s82, 24                                    // 00000000AA24: 8F3D9852
	s_and_b32 s82, s82, 0xffffff                               // 00000000AA28: 8652FF52 00FFFFFF
	s_mul_i32 s82, s82, s71                                    // 00000000AA30: 92524752
	s_mul_i32 s61, s60, s61                                    // 00000000AA34: 923D3D3C
	s_add_u32 s82, s82, s61                                    // 00000000AA38: 80523D52
	v_mul_lo_u32 v7, v4, s82                                   // 00000000AA3C: D2850007 0000A504
	v_add_u32_e32 v78, v6, v7                                  // 00000000AA44: 689C0F06
	v_readlane_b32 s82, v3, 26                                 // 00000000AA48: D2890052 00013503
	s_lshr_b32 s61, s82, 24                                    // 00000000AA50: 8F3D9852
	s_and_b32 s82, s82, 0xffffff                               // 00000000AA54: 8652FF52 00FFFFFF
	s_mul_i32 s82, s82, s71                                    // 00000000AA5C: 92524752
	s_mul_i32 s61, s60, s61                                    // 00000000AA60: 923D3D3C
	s_add_u32 s82, s82, s61                                    // 00000000AA64: 80523D52
	v_mul_lo_u32 v6, v5, s82                                   // 00000000AA68: D2850006 0000A505
	v_readlane_b32 s82, v3, 27                                 // 00000000AA70: D2890052 00013703
	s_lshr_b32 s61, s82, 24                                    // 00000000AA78: 8F3D9852
	s_and_b32 s82, s82, 0xffffff                               // 00000000AA7C: 8652FF52 00FFFFFF
	s_mul_i32 s82, s82, s71                                    // 00000000AA84: 92524752
	s_mul_i32 s61, s60, s61                                    // 00000000AA88: 923D3D3C
	s_add_u32 s82, s82, s61                                    // 00000000AA8C: 80523D52
	v_mul_lo_u32 v7, v4, s82                                   // 00000000AA90: D2850007 0000A504
	v_add_u32_e32 v79, v6, v7                                  // 00000000AA98: 689E0F06
	v_readlane_b32 s82, v3, 28                                 // 00000000AA9C: D2890052 00013903
	s_lshr_b32 s61, s82, 24                                    // 00000000AAA4: 8F3D9852
	s_and_b32 s82, s82, 0xffffff                               // 00000000AAA8: 8652FF52 00FFFFFF
	s_mul_i32 s82, s82, s71                                    // 00000000AAB0: 92524752
	s_mul_i32 s61, s60, s61                                    // 00000000AAB4: 923D3D3C
	s_add_u32 s82, s82, s61                                    // 00000000AAB8: 80523D52
	v_mul_lo_u32 v6, v5, s82                                   // 00000000AABC: D2850006 0000A505
	v_readlane_b32 s82, v3, 29                                 // 00000000AAC4: D2890052 00013B03
	s_lshr_b32 s61, s82, 24                                    // 00000000AACC: 8F3D9852
	s_and_b32 s82, s82, 0xffffff                               // 00000000AAD0: 8652FF52 00FFFFFF
	s_mul_i32 s82, s82, s71                                    // 00000000AAD8: 92524752
	s_mul_i32 s61, s60, s61                                    // 00000000AADC: 923D3D3C
	s_add_u32 s82, s82, s61                                    // 00000000AAE0: 80523D52
	v_mul_lo_u32 v7, v4, s82                                   // 00000000AAE4: D2850007 0000A504
	v_add_u32_e32 v80, v6, v7                                  // 00000000AAEC: 68A00F06
	v_readlane_b32 s82, v3, 30                                 // 00000000AAF0: D2890052 00013D03
	s_lshr_b32 s61, s82, 24                                    // 00000000AAF8: 8F3D9852
	s_and_b32 s82, s82, 0xffffff                               // 00000000AAFC: 8652FF52 00FFFFFF
	s_mul_i32 s82, s82, s71                                    // 00000000AB04: 92524752
	s_mul_i32 s61, s60, s61                                    // 00000000AB08: 923D3D3C
	s_add_u32 s82, s82, s61                                    // 00000000AB0C: 80523D52
	v_mul_lo_u32 v6, v5, s82                                   // 00000000AB10: D2850006 0000A505
	v_readlane_b32 s82, v3, 31                                 // 00000000AB18: D2890052 00013F03
	s_lshr_b32 s61, s82, 24                                    // 00000000AB20: 8F3D9852
	s_and_b32 s82, s82, 0xffffff                               // 00000000AB24: 8652FF52 00FFFFFF
	s_mul_i32 s82, s82, s71                                    // 00000000AB2C: 92524752
	s_mul_i32 s61, s60, s61                                    // 00000000AB30: 923D3D3C
	s_add_u32 s82, s82, s61                                    // 00000000AB34: 80523D52
	v_mul_lo_u32 v7, v4, s82                                   // 00000000AB38: D2850007 0000A504
	v_add_u32_e32 v81, v6, v7                                  // 00000000AB40: 68A20F06
	v_readlane_b32 s82, v3, 32                                 // 00000000AB44: D2890052 00014103
	s_lshr_b32 s61, s82, 24                                    // 00000000AB4C: 8F3D9852
	s_and_b32 s82, s82, 0xffffff                               // 00000000AB50: 8652FF52 00FFFFFF
	s_mul_i32 s82, s82, s71                                    // 00000000AB58: 92524752
	s_mul_i32 s61, s60, s61                                    // 00000000AB5C: 923D3D3C
	s_add_u32 s82, s82, s61                                    // 00000000AB60: 80523D52
	v_mul_lo_u32 v6, v5, s82                                   // 00000000AB64: D2850006 0000A505
	v_readlane_b32 s82, v3, 33                                 // 00000000AB6C: D2890052 00014303
	s_lshr_b32 s61, s82, 24                                    // 00000000AB74: 8F3D9852
	s_and_b32 s82, s82, 0xffffff                               // 00000000AB78: 8652FF52 00FFFFFF
	s_mul_i32 s82, s82, s71                                    // 00000000AB80: 92524752
	s_mul_i32 s61, s60, s61                                    // 00000000AB84: 923D3D3C
	s_add_u32 s82, s82, s61                                    // 00000000AB88: 80523D52
	v_mul_lo_u32 v7, v4, s82                                   // 00000000AB8C: D2850007 0000A504
	v_add_u32_e32 v82, v6, v7                                  // 00000000AB94: 68A40F06
	v_readlane_b32 s82, v3, 34                                 // 00000000AB98: D2890052 00014503
	s_lshr_b32 s61, s82, 24                                    // 00000000ABA0: 8F3D9852
	s_and_b32 s82, s82, 0xffffff                               // 00000000ABA4: 8652FF52 00FFFFFF
	s_mul_i32 s82, s82, s71                                    // 00000000ABAC: 92524752
	s_mul_i32 s61, s60, s61                                    // 00000000ABB0: 923D3D3C
	s_add_u32 s82, s82, s61                                    // 00000000ABB4: 80523D52
	v_mul_lo_u32 v6, v5, s82                                   // 00000000ABB8: D2850006 0000A505
	v_readlane_b32 s82, v3, 35                                 // 00000000ABC0: D2890052 00014703
	s_lshr_b32 s61, s82, 24                                    // 00000000ABC8: 8F3D9852
	s_and_b32 s82, s82, 0xffffff                               // 00000000ABCC: 8652FF52 00FFFFFF
	s_mul_i32 s82, s82, s71                                    // 00000000ABD4: 92524752
	s_mul_i32 s61, s60, s61                                    // 00000000ABD8: 923D3D3C
	s_add_u32 s82, s82, s61                                    // 00000000ABDC: 80523D52
	v_mul_lo_u32 v7, v4, s82                                   // 00000000ABE0: D2850007 0000A504
	v_add_u32_e32 v83, v6, v7                                  // 00000000ABE8: 68A60F06
	v_and_b32_e32 v4, 31, v0                                   // 00000000ABEC: 2608009F
	v_lshrrev_b32_e32 v4, 1, v4                                // 00000000ABF0: 20080881
	s_cmp_eq_u32 s88, 0                                        // 00000000ABF4: BF068058
	s_cselect_b32 s61, 2, 4                                    // 00000000ABF8: 853D8482
	v_mul_lo_u32 v4, v4, s61                                   // 00000000ABFC: D2850004 00007B04
	v_and_b32_e64 v5, v0, 1                                    // 00000000AC04: D1130005 00010300
	v_add_u32_e32 v4, v4, v5                                   // 00000000AC0C: 68080B04
	v_lshlrev_b32_e32 v4, 2, v4                                // 00000000AC10: 24080882
	v_add_u32_e32 v66, v66, v4                                 // 00000000AC14: 68840942
	v_add_u32_e32 v67, v67, v4                                 // 00000000AC18: 68860943
	v_add_u32_e32 v68, v68, v4                                 // 00000000AC1C: 68880944
	v_add_u32_e32 v69, v69, v4                                 // 00000000AC20: 688A0945
	v_add_u32_e32 v70, v70, v4                                 // 00000000AC24: 688C0946
	v_add_u32_e32 v71, v71, v4                                 // 00000000AC28: 688E0947
	v_add_u32_e32 v72, v72, v4                                 // 00000000AC2C: 68900948
	v_add_u32_e32 v73, v73, v4                                 // 00000000AC30: 68920949
	v_add_u32_e32 v74, v74, v4                                 // 00000000AC34: 6894094A
	v_add_u32_e32 v75, v75, v4                                 // 00000000AC38: 6896094B
	v_add_u32_e32 v76, v76, v4                                 // 00000000AC3C: 6898094C
	v_add_u32_e32 v77, v77, v4                                 // 00000000AC40: 689A094D
	v_add_u32_e32 v78, v78, v4                                 // 00000000AC44: 689C094E
	v_add_u32_e32 v79, v79, v4                                 // 00000000AC48: 689E094F
	v_add_u32_e32 v80, v80, v4                                 // 00000000AC4C: 68A00950
	v_add_u32_e32 v81, v81, v4                                 // 00000000AC50: 68A20951
	v_add_u32_e32 v82, v82, v4                                 // 00000000AC54: 68A40952
	v_add_u32_e32 v83, v83, v4                                 // 00000000AC58: 68A60953
	s_waitcnt lgkmcnt(0)                                       // 00000000AC5C: BF8CC07F
	s_barrier                                                  // 00000000AC60: BF8A0000
	ds_read_b32 v88, v21                                       // 00000000AC64: D86C0000 58000015
	ds_read_b32 v89, v21 offset:64                             // 00000000AC6C: D86C0040 59000015
	ds_read_b32 v90, v21 offset:2176                           // 00000000AC74: D86C0880 5A000015
	ds_read_b32 v91, v21 offset:2240                           // 00000000AC7C: D86C08C0 5B000015
	ds_read_b32 v92, v21 offset:4352                           // 00000000AC84: D86C1100 5C000015
	ds_read_b32 v93, v21 offset:4416                           // 00000000AC8C: D86C1140 5D000015
	ds_read_b32 v94, v21 offset:6528                           // 00000000AC94: D86C1980 5E000015
	ds_read_b32 v95, v21 offset:6592                           // 00000000AC9C: D86C19C0 5F000015
	ds_read_b32 v96, v21 offset:8704                           // 00000000ACA4: D86C2200 60000015
	ds_read_b32 v97, v21 offset:8768                           // 00000000ACAC: D86C2240 61000015
	ds_read_b32 v98, v21 offset:10880                          // 00000000ACB4: D86C2A80 62000015
	ds_read_b32 v99, v21 offset:10944                          // 00000000ACBC: D86C2AC0 63000015
	ds_read_b32 v100, v21 offset:13056                         // 00000000ACC4: D86C3300 64000015
	ds_read_b32 v101, v21 offset:13120                         // 00000000ACCC: D86C3340 65000015
	ds_read_b32 v102, v21 offset:15232                         // 00000000ACD4: D86C3B80 66000015
	ds_read_b32 v103, v21 offset:15296                         // 00000000ACDC: D86C3BC0 67000015
	ds_read_b32 v104, v21 offset:17408                         // 00000000ACE4: D86C4400 68000015
	ds_read_b32 v105, v21 offset:17472                         // 00000000ACEC: D86C4440 69000015
	s_waitcnt lgkmcnt(0)                                       // 00000000ACF4: BF8CC07F
	s_mov_b32 s36, -1                                          // 00000000ACF8: BEA400C1
	s_mov_b32 s37, -1                                          // 00000000ACFC: BEA500C1
	v_mov_b32_e32 v7, 0                                        // 00000000AD00: 7E0E0280
	s_or_b32 s9, s9, 0x40000                                   // 00000000AD04: 8709FF09 00040000
	s_mov_b64 exec, s[36:37]                                   // 00000000AD0C: BEFE0124
	v_mov_b32_e32 v6, v66                                      // 00000000AD10: 7E0C0342
	s_mov_b64 s[60:61], 0                                      // 00000000AD14: BEBC0180
	v_readlane_b32 s82, v3, 0                                  // 00000000AD18: D2890052 00010103
	s_and_b32 s82, s82, 0xffffff                               // 00000000AD20: 8652FF52 00FFFFFF
	s_cmp_lt_u32 s82, s66                                      // 00000000AD28: BF0A4252
	s_cselect_b32 s20, s36, s60                                // 00000000AD2C: 85143C24
	v_readlane_b32 s82, v3, 1                                  // 00000000AD30: D2890052 00010303
	s_and_b32 s82, s82, 0xffffff                               // 00000000AD38: 8652FF52 00FFFFFF
	s_cmp_lt_u32 s82, s66                                      // 00000000AD40: BF0A4252
	s_cselect_b32 s21, s36, s60                                // 00000000AD44: 85153C24
	s_mov_b64 exec, s[20:21]                                   // 00000000AD48: BEFE0114
	buffer_store_dword v88, v6, s[8:11], 0 offen               // 00000000AD4C: E0701000 80025806
	s_mov_b64 exec, s[36:37]                                   // 00000000AD54: BEFE0124
	v_mov_b32_e32 v6, v67                                      // 00000000AD58: 7E0C0343
	s_mov_b64 s[60:61], 0                                      // 00000000AD5C: BEBC0180
	v_readlane_b32 s82, v3, 2                                  // 00000000AD60: D2890052 00010503
	s_and_b32 s82, s82, 0xffffff                               // 00000000AD68: 8652FF52 00FFFFFF
	s_cmp_lt_u32 s82, s66                                      // 00000000AD70: BF0A4252
	s_cselect_b32 s20, s36, s60                                // 00000000AD74: 85143C24
	v_readlane_b32 s82, v3, 3                                  // 00000000AD78: D2890052 00010703
	s_and_b32 s82, s82, 0xffffff                               // 00000000AD80: 8652FF52 00FFFFFF
	s_cmp_lt_u32 s82, s66                                      // 00000000AD88: BF0A4252
	s_cselect_b32 s21, s36, s60                                // 00000000AD8C: 85153C24
	s_mov_b64 exec, s[20:21]                                   // 00000000AD90: BEFE0114
	buffer_store_dword v89, v6, s[8:11], 0 offen               // 00000000AD94: E0701000 80025906
	s_mov_b64 exec, s[36:37]                                   // 00000000AD9C: BEFE0124
	v_mov_b32_e32 v6, v68                                      // 00000000ADA0: 7E0C0344
	s_mov_b64 s[60:61], 0                                      // 00000000ADA4: BEBC0180
	v_readlane_b32 s82, v3, 4                                  // 00000000ADA8: D2890052 00010903
	s_and_b32 s82, s82, 0xffffff                               // 00000000ADB0: 8652FF52 00FFFFFF
	s_cmp_lt_u32 s82, s66                                      // 00000000ADB8: BF0A4252
	s_cselect_b32 s20, s36, s60                                // 00000000ADBC: 85143C24
	v_readlane_b32 s82, v3, 5                                  // 00000000ADC0: D2890052 00010B03
	s_and_b32 s82, s82, 0xffffff                               // 00000000ADC8: 8652FF52 00FFFFFF
	s_cmp_lt_u32 s82, s66                                      // 00000000ADD0: BF0A4252
	s_cselect_b32 s21, s36, s60                                // 00000000ADD4: 85153C24
	s_mov_b64 exec, s[20:21]                                   // 00000000ADD8: BEFE0114
	buffer_store_dword v90, v6, s[8:11], 0 offen               // 00000000ADDC: E0701000 80025A06
	s_mov_b64 exec, s[36:37]                                   // 00000000ADE4: BEFE0124
	v_mov_b32_e32 v6, v69                                      // 00000000ADE8: 7E0C0345
	s_mov_b64 s[60:61], 0                                      // 00000000ADEC: BEBC0180
	v_readlane_b32 s82, v3, 6                                  // 00000000ADF0: D2890052 00010D03
	s_and_b32 s82, s82, 0xffffff                               // 00000000ADF8: 8652FF52 00FFFFFF
	s_cmp_lt_u32 s82, s66                                      // 00000000AE00: BF0A4252
	s_cselect_b32 s20, s36, s60                                // 00000000AE04: 85143C24
	v_readlane_b32 s82, v3, 7                                  // 00000000AE08: D2890052 00010F03
	s_and_b32 s82, s82, 0xffffff                               // 00000000AE10: 8652FF52 00FFFFFF
	s_cmp_lt_u32 s82, s66                                      // 00000000AE18: BF0A4252
	s_cselect_b32 s21, s36, s60                                // 00000000AE1C: 85153C24
	s_mov_b64 exec, s[20:21]                                   // 00000000AE20: BEFE0114
	buffer_store_dword v91, v6, s[8:11], 0 offen               // 00000000AE24: E0701000 80025B06
	s_mov_b64 exec, s[36:37]                                   // 00000000AE2C: BEFE0124
	v_mov_b32_e32 v6, v70                                      // 00000000AE30: 7E0C0346
	s_mov_b64 s[60:61], 0                                      // 00000000AE34: BEBC0180
	v_readlane_b32 s82, v3, 8                                  // 00000000AE38: D2890052 00011103
	s_and_b32 s82, s82, 0xffffff                               // 00000000AE40: 8652FF52 00FFFFFF
	s_cmp_lt_u32 s82, s66                                      // 00000000AE48: BF0A4252
	s_cselect_b32 s20, s36, s60                                // 00000000AE4C: 85143C24
	v_readlane_b32 s82, v3, 9                                  // 00000000AE50: D2890052 00011303
	s_and_b32 s82, s82, 0xffffff                               // 00000000AE58: 8652FF52 00FFFFFF
	s_cmp_lt_u32 s82, s66                                      // 00000000AE60: BF0A4252
	s_cselect_b32 s21, s36, s60                                // 00000000AE64: 85153C24
	s_mov_b64 exec, s[20:21]                                   // 00000000AE68: BEFE0114
	buffer_store_dword v92, v6, s[8:11], 0 offen               // 00000000AE6C: E0701000 80025C06
	s_mov_b64 exec, s[36:37]                                   // 00000000AE74: BEFE0124
	v_mov_b32_e32 v6, v71                                      // 00000000AE78: 7E0C0347
	s_mov_b64 s[60:61], 0                                      // 00000000AE7C: BEBC0180
	v_readlane_b32 s82, v3, 10                                 // 00000000AE80: D2890052 00011503
	s_and_b32 s82, s82, 0xffffff                               // 00000000AE88: 8652FF52 00FFFFFF
	s_cmp_lt_u32 s82, s66                                      // 00000000AE90: BF0A4252
	s_cselect_b32 s20, s36, s60                                // 00000000AE94: 85143C24
	v_readlane_b32 s82, v3, 11                                 // 00000000AE98: D2890052 00011703
	s_and_b32 s82, s82, 0xffffff                               // 00000000AEA0: 8652FF52 00FFFFFF
	s_cmp_lt_u32 s82, s66                                      // 00000000AEA8: BF0A4252
	s_cselect_b32 s21, s36, s60                                // 00000000AEAC: 85153C24
	s_mov_b64 exec, s[20:21]                                   // 00000000AEB0: BEFE0114
	buffer_store_dword v93, v6, s[8:11], 0 offen               // 00000000AEB4: E0701000 80025D06
	s_mov_b64 exec, s[36:37]                                   // 00000000AEBC: BEFE0124
	v_mov_b32_e32 v6, v72                                      // 00000000AEC0: 7E0C0348
	s_mov_b64 s[60:61], 0                                      // 00000000AEC4: BEBC0180
	v_readlane_b32 s82, v3, 12                                 // 00000000AEC8: D2890052 00011903
	s_and_b32 s82, s82, 0xffffff                               // 00000000AED0: 8652FF52 00FFFFFF
	s_cmp_lt_u32 s82, s66                                      // 00000000AED8: BF0A4252
	s_cselect_b32 s20, s36, s60                                // 00000000AEDC: 85143C24
	v_readlane_b32 s82, v3, 13                                 // 00000000AEE0: D2890052 00011B03
	s_and_b32 s82, s82, 0xffffff                               // 00000000AEE8: 8652FF52 00FFFFFF
	s_cmp_lt_u32 s82, s66                                      // 00000000AEF0: BF0A4252
	s_cselect_b32 s21, s36, s60                                // 00000000AEF4: 85153C24
	s_mov_b64 exec, s[20:21]                                   // 00000000AEF8: BEFE0114
	buffer_store_dword v94, v6, s[8:11], 0 offen               // 00000000AEFC: E0701000 80025E06
	s_mov_b64 exec, s[36:37]                                   // 00000000AF04: BEFE0124
	v_mov_b32_e32 v6, v73                                      // 00000000AF08: 7E0C0349
	s_mov_b64 s[60:61], 0                                      // 00000000AF0C: BEBC0180
	v_readlane_b32 s82, v3, 14                                 // 00000000AF10: D2890052 00011D03
	s_and_b32 s82, s82, 0xffffff                               // 00000000AF18: 8652FF52 00FFFFFF
	s_cmp_lt_u32 s82, s66                                      // 00000000AF20: BF0A4252
	s_cselect_b32 s20, s36, s60                                // 00000000AF24: 85143C24
	v_readlane_b32 s82, v3, 15                                 // 00000000AF28: D2890052 00011F03
	s_and_b32 s82, s82, 0xffffff                               // 00000000AF30: 8652FF52 00FFFFFF
	s_cmp_lt_u32 s82, s66                                      // 00000000AF38: BF0A4252
	s_cselect_b32 s21, s36, s60                                // 00000000AF3C: 85153C24
	s_mov_b64 exec, s[20:21]                                   // 00000000AF40: BEFE0114
	buffer_store_dword v95, v6, s[8:11], 0 offen               // 00000000AF44: E0701000 80025F06
	s_mov_b64 exec, s[36:37]                                   // 00000000AF4C: BEFE0124
	v_mov_b32_e32 v6, v74                                      // 00000000AF50: 7E0C034A
	s_mov_b64 s[60:61], 0                                      // 00000000AF54: BEBC0180
	v_readlane_b32 s82, v3, 16                                 // 00000000AF58: D2890052 00012103
	s_and_b32 s82, s82, 0xffffff                               // 00000000AF60: 8652FF52 00FFFFFF
	s_cmp_lt_u32 s82, s66                                      // 00000000AF68: BF0A4252
	s_cselect_b32 s20, s36, s60                                // 00000000AF6C: 85143C24
	v_readlane_b32 s82, v3, 17                                 // 00000000AF70: D2890052 00012303
	s_and_b32 s82, s82, 0xffffff                               // 00000000AF78: 8652FF52 00FFFFFF
	s_cmp_lt_u32 s82, s66                                      // 00000000AF80: BF0A4252
	s_cselect_b32 s21, s36, s60                                // 00000000AF84: 85153C24
	s_mov_b64 exec, s[20:21]                                   // 00000000AF88: BEFE0114
	buffer_store_dword v96, v6, s[8:11], 0 offen               // 00000000AF8C: E0701000 80026006
	s_mov_b64 exec, s[36:37]                                   // 00000000AF94: BEFE0124
	v_mov_b32_e32 v6, v75                                      // 00000000AF98: 7E0C034B
	s_mov_b64 s[60:61], 0                                      // 00000000AF9C: BEBC0180
	v_readlane_b32 s82, v3, 18                                 // 00000000AFA0: D2890052 00012503
	s_and_b32 s82, s82, 0xffffff                               // 00000000AFA8: 8652FF52 00FFFFFF
	s_cmp_lt_u32 s82, s66                                      // 00000000AFB0: BF0A4252
	s_cselect_b32 s20, s36, s60                                // 00000000AFB4: 85143C24
	v_readlane_b32 s82, v3, 19                                 // 00000000AFB8: D2890052 00012703
	s_and_b32 s82, s82, 0xffffff                               // 00000000AFC0: 8652FF52 00FFFFFF
	s_cmp_lt_u32 s82, s66                                      // 00000000AFC8: BF0A4252
	s_cselect_b32 s21, s36, s60                                // 00000000AFCC: 85153C24
	s_mov_b64 exec, s[20:21]                                   // 00000000AFD0: BEFE0114
	buffer_store_dword v97, v6, s[8:11], 0 offen               // 00000000AFD4: E0701000 80026106
	s_mov_b64 exec, s[36:37]                                   // 00000000AFDC: BEFE0124
	v_mov_b32_e32 v6, v76                                      // 00000000AFE0: 7E0C034C
	s_mov_b64 s[60:61], 0                                      // 00000000AFE4: BEBC0180
	v_readlane_b32 s82, v3, 20                                 // 00000000AFE8: D2890052 00012903
	s_and_b32 s82, s82, 0xffffff                               // 00000000AFF0: 8652FF52 00FFFFFF
	s_cmp_lt_u32 s82, s66                                      // 00000000AFF8: BF0A4252
	s_cselect_b32 s20, s36, s60                                // 00000000AFFC: 85143C24
	v_readlane_b32 s82, v3, 21                                 // 00000000B000: D2890052 00012B03
	s_and_b32 s82, s82, 0xffffff                               // 00000000B008: 8652FF52 00FFFFFF
	s_cmp_lt_u32 s82, s66                                      // 00000000B010: BF0A4252
	s_cselect_b32 s21, s36, s60                                // 00000000B014: 85153C24
	s_mov_b64 exec, s[20:21]                                   // 00000000B018: BEFE0114
	buffer_store_dword v98, v6, s[8:11], 0 offen               // 00000000B01C: E0701000 80026206
	s_mov_b64 exec, s[36:37]                                   // 00000000B024: BEFE0124
	v_mov_b32_e32 v6, v77                                      // 00000000B028: 7E0C034D
	s_mov_b64 s[60:61], 0                                      // 00000000B02C: BEBC0180
	v_readlane_b32 s82, v3, 22                                 // 00000000B030: D2890052 00012D03
	s_and_b32 s82, s82, 0xffffff                               // 00000000B038: 8652FF52 00FFFFFF
	s_cmp_lt_u32 s82, s66                                      // 00000000B040: BF0A4252
	s_cselect_b32 s20, s36, s60                                // 00000000B044: 85143C24
	v_readlane_b32 s82, v3, 23                                 // 00000000B048: D2890052 00012F03
	s_and_b32 s82, s82, 0xffffff                               // 00000000B050: 8652FF52 00FFFFFF
	s_cmp_lt_u32 s82, s66                                      // 00000000B058: BF0A4252
	s_cselect_b32 s21, s36, s60                                // 00000000B05C: 85153C24
	s_mov_b64 exec, s[20:21]                                   // 00000000B060: BEFE0114
	buffer_store_dword v99, v6, s[8:11], 0 offen               // 00000000B064: E0701000 80026306
	s_mov_b64 exec, s[36:37]                                   // 00000000B06C: BEFE0124
	v_mov_b32_e32 v6, v78                                      // 00000000B070: 7E0C034E
	s_mov_b64 s[60:61], 0                                      // 00000000B074: BEBC0180
	v_readlane_b32 s82, v3, 24                                 // 00000000B078: D2890052 00013103
	s_and_b32 s82, s82, 0xffffff                               // 00000000B080: 8652FF52 00FFFFFF
	s_cmp_lt_u32 s82, s66                                      // 00000000B088: BF0A4252
	s_cselect_b32 s20, s36, s60                                // 00000000B08C: 85143C24
	v_readlane_b32 s82, v3, 25                                 // 00000000B090: D2890052 00013303
	s_and_b32 s82, s82, 0xffffff                               // 00000000B098: 8652FF52 00FFFFFF
	s_cmp_lt_u32 s82, s66                                      // 00000000B0A0: BF0A4252
	s_cselect_b32 s21, s36, s60                                // 00000000B0A4: 85153C24
	s_mov_b64 exec, s[20:21]                                   // 00000000B0A8: BEFE0114
	buffer_store_dword v100, v6, s[8:11], 0 offen              // 00000000B0AC: E0701000 80026406
	s_mov_b64 exec, s[36:37]                                   // 00000000B0B4: BEFE0124
	v_mov_b32_e32 v6, v79                                      // 00000000B0B8: 7E0C034F
	s_mov_b64 s[60:61], 0                                      // 00000000B0BC: BEBC0180
	v_readlane_b32 s82, v3, 26                                 // 00000000B0C0: D2890052 00013503
	s_and_b32 s82, s82, 0xffffff                               // 00000000B0C8: 8652FF52 00FFFFFF
	s_cmp_lt_u32 s82, s66                                      // 00000000B0D0: BF0A4252
	s_cselect_b32 s20, s36, s60                                // 00000000B0D4: 85143C24
	v_readlane_b32 s82, v3, 27                                 // 00000000B0D8: D2890052 00013703
	s_and_b32 s82, s82, 0xffffff                               // 00000000B0E0: 8652FF52 00FFFFFF
	s_cmp_lt_u32 s82, s66                                      // 00000000B0E8: BF0A4252
	s_cselect_b32 s21, s36, s60                                // 00000000B0EC: 85153C24
	s_mov_b64 exec, s[20:21]                                   // 00000000B0F0: BEFE0114
	buffer_store_dword v101, v6, s[8:11], 0 offen              // 00000000B0F4: E0701000 80026506
	s_mov_b64 exec, s[36:37]                                   // 00000000B0FC: BEFE0124
	v_mov_b32_e32 v6, v80                                      // 00000000B100: 7E0C0350
	s_mov_b64 s[60:61], 0                                      // 00000000B104: BEBC0180
	v_readlane_b32 s82, v3, 28                                 // 00000000B108: D2890052 00013903
	s_and_b32 s82, s82, 0xffffff                               // 00000000B110: 8652FF52 00FFFFFF
	s_cmp_lt_u32 s82, s66                                      // 00000000B118: BF0A4252
	s_cselect_b32 s20, s36, s60                                // 00000000B11C: 85143C24
	v_readlane_b32 s82, v3, 29                                 // 00000000B120: D2890052 00013B03
	s_and_b32 s82, s82, 0xffffff                               // 00000000B128: 8652FF52 00FFFFFF
	s_cmp_lt_u32 s82, s66                                      // 00000000B130: BF0A4252
	s_cselect_b32 s21, s36, s60                                // 00000000B134: 85153C24
	s_mov_b64 exec, s[20:21]                                   // 00000000B138: BEFE0114
	buffer_store_dword v102, v6, s[8:11], 0 offen              // 00000000B13C: E0701000 80026606
	s_mov_b64 exec, s[36:37]                                   // 00000000B144: BEFE0124
	v_mov_b32_e32 v6, v81                                      // 00000000B148: 7E0C0351
	s_mov_b64 s[60:61], 0                                      // 00000000B14C: BEBC0180
	v_readlane_b32 s82, v3, 30                                 // 00000000B150: D2890052 00013D03
	s_and_b32 s82, s82, 0xffffff                               // 00000000B158: 8652FF52 00FFFFFF
	s_cmp_lt_u32 s82, s66                                      // 00000000B160: BF0A4252
	s_cselect_b32 s20, s36, s60                                // 00000000B164: 85143C24
	v_readlane_b32 s82, v3, 31                                 // 00000000B168: D2890052 00013F03
	s_and_b32 s82, s82, 0xffffff                               // 00000000B170: 8652FF52 00FFFFFF
	s_cmp_lt_u32 s82, s66                                      // 00000000B178: BF0A4252
	s_cselect_b32 s21, s36, s60                                // 00000000B17C: 85153C24
	s_mov_b64 exec, s[20:21]                                   // 00000000B180: BEFE0114
	buffer_store_dword v103, v6, s[8:11], 0 offen              // 00000000B184: E0701000 80026706
	s_mov_b64 exec, s[36:37]                                   // 00000000B18C: BEFE0124
	v_mov_b32_e32 v6, v82                                      // 00000000B190: 7E0C0352
	s_mov_b64 s[60:61], 0                                      // 00000000B194: BEBC0180
	v_readlane_b32 s82, v3, 32                                 // 00000000B198: D2890052 00014103
	s_and_b32 s82, s82, 0xffffff                               // 00000000B1A0: 8652FF52 00FFFFFF
	s_cmp_lt_u32 s82, s66                                      // 00000000B1A8: BF0A4252
	s_cselect_b32 s20, s36, s60                                // 00000000B1AC: 85143C24
	v_readlane_b32 s82, v3, 33                                 // 00000000B1B0: D2890052 00014303
	s_and_b32 s82, s82, 0xffffff                               // 00000000B1B8: 8652FF52 00FFFFFF
	s_cmp_lt_u32 s82, s66                                      // 00000000B1C0: BF0A4252
	s_cselect_b32 s21, s36, s60                                // 00000000B1C4: 85153C24
	s_mov_b64 exec, s[20:21]                                   // 00000000B1C8: BEFE0114
	buffer_store_dword v104, v6, s[8:11], 0 offen              // 00000000B1CC: E0701000 80026806
	s_mov_b64 exec, s[36:37]                                   // 00000000B1D4: BEFE0124
	v_mov_b32_e32 v6, v83                                      // 00000000B1D8: 7E0C0353
	s_mov_b64 s[60:61], 0                                      // 00000000B1DC: BEBC0180
	v_readlane_b32 s82, v3, 34                                 // 00000000B1E0: D2890052 00014503
	s_and_b32 s82, s82, 0xffffff                               // 00000000B1E8: 8652FF52 00FFFFFF
	s_cmp_lt_u32 s82, s66                                      // 00000000B1F0: BF0A4252
	s_cselect_b32 s20, s36, s60                                // 00000000B1F4: 85143C24
	v_readlane_b32 s82, v3, 35                                 // 00000000B1F8: D2890052 00014703
	s_and_b32 s82, s82, 0xffffff                               // 00000000B200: 8652FF52 00FFFFFF
	s_cmp_lt_u32 s82, s66                                      // 00000000B208: BF0A4252
	s_cselect_b32 s21, s36, s60                                // 00000000B20C: 85153C24
	s_mov_b64 exec, s[20:21]                                   // 00000000B210: BEFE0114
	buffer_store_dword v105, v6, s[8:11], 0 offen              // 00000000B214: E0701000 80026906
	s_mov_b64 exec, s[36:37]                                   // 00000000B21C: BEFE0124
	s_cmp_eq_u32 s7, 0                                         // 00000000B220: BF068007
	s_cbranch_scc0 label_5300                                  // 00000000B224: BF8430F3
	s_waitcnt vmcnt(18)                                        // 00000000B228: BF8C4F72
	s_mov_b32 s8, s90                                          // 00000000B22C: BE88005A
	s_mov_b32 s9, s91                                          // 00000000B230: BE89005B
	s_mul_i32 s60, s66, s71                                    // 00000000B234: 923C4742
	s_add_u32 s8, s60, s8                                      // 00000000B238: 8008083C
	s_addc_u32 s9, 0, s9                                       // 00000000B23C: 82090980
	s_lshr_b32 s71, s71, 5                                     // 00000000B240: 8F478547
	s_mul_i32 s60, s66, s71                                    // 00000000B244: 923C4742
	s_mov_b32 s10, s60                                         // 00000000B248: BE8A003C
	s_lshr_b32 s61, s65, 5                                     // 00000000B24C: 8F3D8541
	s_mul_i32 s60, s2, 4                                       // 00000000B250: 923C8402
	v_lshrrev_b32_e32 v4, 24, v30                              // 00000000B254: 20083C98
	v_mul_lo_u32 v4, s61, v4                                   // 00000000B258: D2850004 0002083D
	v_and_b32_e32 v30, 0xffffff, v30                           // 00000000B260: 263C3CFF 00FFFFFF
	v_mul_lo_u32 v30, s71, v30                                 // 00000000B268: D285001E 00023C47
	v_add_u32_e32 v30, v4, v30                                 // 00000000B270: 683C3D04
	v_add_u32_e32 v30, s60, v30                                // 00000000B274: 683C3C3C
	v_lshrrev_b32_e32 v4, 24, v31                              // 00000000B278: 20083E98
	v_mul_lo_u32 v4, s61, v4                                   // 00000000B27C: D2850004 0002083D
	v_and_b32_e32 v31, 0xffffff, v31                           // 00000000B284: 263E3EFF 00FFFFFF
	v_mul_lo_u32 v31, s71, v31                                 // 00000000B28C: D285001F 00023E47
	v_add_u32_e32 v31, v4, v31                                 // 00000000B294: 683E3F04
	v_add_u32_e32 v31, s60, v31                                // 00000000B298: 683E3E3C
	v_lshrrev_b32_e32 v4, 24, v32                              // 00000000B29C: 20084098
	v_mul_lo_u32 v4, s61, v4                                   // 00000000B2A0: D2850004 0002083D
	v_and_b32_e32 v32, 0xffffff, v32                           // 00000000B2A8: 264040FF 00FFFFFF
	v_mul_lo_u32 v32, s71, v32                                 // 00000000B2B0: D2850020 00024047
	v_add_u32_e32 v32, v4, v32                                 // 00000000B2B8: 68404104
	v_add_u32_e32 v32, s60, v32                                // 00000000B2BC: 6840403C
	v_lshrrev_b32_e32 v4, 24, v33                              // 00000000B2C0: 20084298
	v_mul_lo_u32 v4, s61, v4                                   // 00000000B2C4: D2850004 0002083D
	v_and_b32_e32 v33, 0xffffff, v33                           // 00000000B2CC: 264242FF 00FFFFFF
	v_mul_lo_u32 v33, s71, v33                                 // 00000000B2D4: D2850021 00024247
	v_add_u32_e32 v33, v4, v33                                 // 00000000B2DC: 68424304
	v_add_u32_e32 v33, s60, v33                                // 00000000B2E0: 6842423C
	v_lshrrev_b32_e32 v4, 24, v34                              // 00000000B2E4: 20084498
	v_mul_lo_u32 v4, s61, v4                                   // 00000000B2E8: D2850004 0002083D
	v_and_b32_e32 v34, 0xffffff, v34                           // 00000000B2F0: 264444FF 00FFFFFF
	v_mul_lo_u32 v34, s71, v34                                 // 00000000B2F8: D2850022 00024447
	v_add_u32_e32 v34, v4, v34                                 // 00000000B300: 68444504
	v_add_u32_e32 v34, s60, v34                                // 00000000B304: 6844443C
	v_lshrrev_b32_e32 v4, 24, v35                              // 00000000B308: 20084698
	v_mul_lo_u32 v4, s61, v4                                   // 00000000B30C: D2850004 0002083D
	v_and_b32_e32 v35, 0xffffff, v35                           // 00000000B314: 264646FF 00FFFFFF
	v_mul_lo_u32 v35, s71, v35                                 // 00000000B31C: D2850023 00024647
	v_add_u32_e32 v35, v4, v35                                 // 00000000B324: 68464704
	v_add_u32_e32 v35, s60, v35                                // 00000000B328: 6846463C
	v_lshrrev_b32_e32 v4, 24, v36                              // 00000000B32C: 20084898
	v_mul_lo_u32 v4, s61, v4                                   // 00000000B330: D2850004 0002083D
	v_and_b32_e32 v36, 0xffffff, v36                           // 00000000B338: 264848FF 00FFFFFF
	v_mul_lo_u32 v36, s71, v36                                 // 00000000B340: D2850024 00024847
	v_add_u32_e32 v36, v4, v36                                 // 00000000B348: 68484904
	v_add_u32_e32 v36, s60, v36                                // 00000000B34C: 6848483C
	v_lshrrev_b32_e32 v4, 24, v37                              // 00000000B350: 20084A98
	v_mul_lo_u32 v4, s61, v4                                   // 00000000B354: D2850004 0002083D
	v_and_b32_e32 v37, 0xffffff, v37                           // 00000000B35C: 264A4AFF 00FFFFFF
	v_mul_lo_u32 v37, s71, v37                                 // 00000000B364: D2850025 00024A47
	v_add_u32_e32 v37, v4, v37                                 // 00000000B36C: 684A4B04
	v_add_u32_e32 v37, s60, v37                                // 00000000B370: 684A4A3C
	v_lshrrev_b32_e32 v4, 24, v38                              // 00000000B374: 20084C98
	v_mul_lo_u32 v4, s61, v4                                   // 00000000B378: D2850004 0002083D
	v_and_b32_e32 v38, 0xffffff, v38                           // 00000000B380: 264C4CFF 00FFFFFF
	v_mul_lo_u32 v38, s71, v38                                 // 00000000B388: D2850026 00024C47
	v_add_u32_e32 v38, v4, v38                                 // 00000000B390: 684C4D04
	v_add_u32_e32 v38, s60, v38                                // 00000000B394: 684C4C3C
	s_mov_b64 exec, 0xffff                                     // 00000000B398: BEFE01FF 0000FFFF
	buffer_store_dword v160, v30, s[8:11], 0 offen             // 00000000B3A0: E0701000 8002A01E
	buffer_store_dword v161, v31, s[8:11], 0 offen             // 00000000B3A8: E0701000 8002A11F
	buffer_store_dword v162, v32, s[8:11], 0 offen             // 00000000B3B0: E0701000 8002A220
	buffer_store_dword v163, v33, s[8:11], 0 offen             // 00000000B3B8: E0701000 8002A321
	buffer_store_dword v164, v34, s[8:11], 0 offen             // 00000000B3C0: E0701000 8002A422
	buffer_store_dword v165, v35, s[8:11], 0 offen             // 00000000B3C8: E0701000 8002A523
	buffer_store_dword v166, v36, s[8:11], 0 offen             // 00000000B3D0: E0701000 8002A624
	buffer_store_dword v167, v37, s[8:11], 0 offen             // 00000000B3D8: E0701000 8002A725
	buffer_store_dword v168, v38, s[8:11], 0 offen             // 00000000B3E0: E0701000 8002A826
	s_mov_b64 exec, s[36:37]                                   // 00000000B3E8: BEFE0124
	s_branch label_5300                                        // 00000000B3EC: BF823081

000000000000b3f0 <label_227C>:
	ds_write_b64 v20, v[88:89]                                 // 00000000B3F0: D89A0000 00005814
	ds_write_b64 v20, v[92:93] offset:4352                     // 00000000B3F8: D89A1100 00005C14
	ds_write_b64 v20, v[96:97] offset:8704                     // 00000000B400: D89A2200 00006014
	ds_write_b64 v20, v[100:101] offset:13056                  // 00000000B408: D89A3300 00006414
	ds_write_b64 v20, v[104:105] offset:17408                  // 00000000B410: D89A4400 00006814
	ds_write_b64 v20, v[108:109] offset:21760                  // 00000000B418: D89A5500 00006C14
	ds_write_b64 v20, v[112:113] offset:26112                  // 00000000B420: D89A6600 00007014
	ds_write_b64 v20, v[116:117] offset:30464                  // 00000000B428: D89A7700 00007414
	ds_write_b64 v20, v[120:121] offset:34816                  // 00000000B430: D89A8800 00007814
	ds_write_b64 v20, v[124:125] offset:2176                   // 00000000B438: D89A0880 00007C14
	ds_write_b64 v20, v[128:129] offset:6528                   // 00000000B440: D89A1980 00008014
	ds_write_b64 v20, v[132:133] offset:10880                  // 00000000B448: D89A2A80 00008414
	ds_write_b64 v20, v[136:137] offset:15232                  // 00000000B450: D89A3B80 00008814
	ds_write_b64 v20, v[140:141] offset:19584                  // 00000000B458: D89A4C80 00008C14
	ds_write_b64 v20, v[144:145] offset:23936                  // 00000000B460: D89A5D80 00009014
	ds_write_b64 v20, v[148:149] offset:28288                  // 00000000B468: D89A6E80 00009414
	ds_write_b64 v20, v[152:153] offset:32640                  // 00000000B470: D89A7F80 00009814
	ds_write_b64 v20, v[156:157] offset:36992                  // 00000000B478: D89A9080 00009C14
	v_lshrrev_b32_e32 v4, 5, v0                                // 00000000B480: 20080085
	v_xor_b32_e32 v5, 1, v4                                    // 00000000B484: 2A0A0881
	s_mul_i32 s60, s65, 1                                      // 00000000B488: 923C8141
	s_cmp_eq_u32 s88, 0                                        // 00000000B48C: BF068058
	s_cselect_b32 s61, 1, 8                                    // 00000000B490: 853D8881
	s_mul_i32 s60, s61, s60                                    // 00000000B494: 923C3C3D
	v_readlane_b32 s82, v3, 0                                  // 00000000B498: D2890052 00010103
	s_lshr_b32 s61, s82, 24                                    // 00000000B4A0: 8F3D9852
	s_and_b32 s82, s82, 0xffffff                               // 00000000B4A4: 8652FF52 00FFFFFF
	s_mul_i32 s82, s82, s71                                    // 00000000B4AC: 92524752
	s_mul_i32 s61, s60, s61                                    // 00000000B4B0: 923D3D3C
	s_add_u32 s82, s82, s61                                    // 00000000B4B4: 80523D52
	v_mul_lo_u32 v6, v5, s82                                   // 00000000B4B8: D2850006 0000A505
	v_readlane_b32 s82, v3, 1                                  // 00000000B4C0: D2890052 00010303
	s_lshr_b32 s61, s82, 24                                    // 00000000B4C8: 8F3D9852
	s_and_b32 s82, s82, 0xffffff                               // 00000000B4CC: 8652FF52 00FFFFFF
	s_mul_i32 s82, s82, s71                                    // 00000000B4D4: 92524752
	s_mul_i32 s61, s60, s61                                    // 00000000B4D8: 923D3D3C
	s_add_u32 s82, s82, s61                                    // 00000000B4DC: 80523D52
	v_mul_lo_u32 v7, v4, s82                                   // 00000000B4E0: D2850007 0000A504
	v_add_u32_e32 v66, v6, v7                                  // 00000000B4E8: 68840F06
	v_readlane_b32 s82, v3, 2                                  // 00000000B4EC: D2890052 00010503
	s_lshr_b32 s61, s82, 24                                    // 00000000B4F4: 8F3D9852
	s_and_b32 s82, s82, 0xffffff                               // 00000000B4F8: 8652FF52 00FFFFFF
	s_mul_i32 s82, s82, s71                                    // 00000000B500: 92524752
	s_mul_i32 s61, s60, s61                                    // 00000000B504: 923D3D3C
	s_add_u32 s82, s82, s61                                    // 00000000B508: 80523D52
	v_mul_lo_u32 v6, v5, s82                                   // 00000000B50C: D2850006 0000A505
	v_readlane_b32 s82, v3, 3                                  // 00000000B514: D2890052 00010703
	s_lshr_b32 s61, s82, 24                                    // 00000000B51C: 8F3D9852
	s_and_b32 s82, s82, 0xffffff                               // 00000000B520: 8652FF52 00FFFFFF
	s_mul_i32 s82, s82, s71                                    // 00000000B528: 92524752
	s_mul_i32 s61, s60, s61                                    // 00000000B52C: 923D3D3C
	s_add_u32 s82, s82, s61                                    // 00000000B530: 80523D52
	v_mul_lo_u32 v7, v4, s82                                   // 00000000B534: D2850007 0000A504
	v_add_u32_e32 v67, v6, v7                                  // 00000000B53C: 68860F06
	v_readlane_b32 s82, v3, 4                                  // 00000000B540: D2890052 00010903
	s_lshr_b32 s61, s82, 24                                    // 00000000B548: 8F3D9852
	s_and_b32 s82, s82, 0xffffff                               // 00000000B54C: 8652FF52 00FFFFFF
	s_mul_i32 s82, s82, s71                                    // 00000000B554: 92524752
	s_mul_i32 s61, s60, s61                                    // 00000000B558: 923D3D3C
	s_add_u32 s82, s82, s61                                    // 00000000B55C: 80523D52
	v_mul_lo_u32 v6, v5, s82                                   // 00000000B560: D2850006 0000A505
	v_readlane_b32 s82, v3, 5                                  // 00000000B568: D2890052 00010B03
	s_lshr_b32 s61, s82, 24                                    // 00000000B570: 8F3D9852
	s_and_b32 s82, s82, 0xffffff                               // 00000000B574: 8652FF52 00FFFFFF
	s_mul_i32 s82, s82, s71                                    // 00000000B57C: 92524752
	s_mul_i32 s61, s60, s61                                    // 00000000B580: 923D3D3C
	s_add_u32 s82, s82, s61                                    // 00000000B584: 80523D52
	v_mul_lo_u32 v7, v4, s82                                   // 00000000B588: D2850007 0000A504
	v_add_u32_e32 v68, v6, v7                                  // 00000000B590: 68880F06
	v_readlane_b32 s82, v3, 6                                  // 00000000B594: D2890052 00010D03
	s_lshr_b32 s61, s82, 24                                    // 00000000B59C: 8F3D9852
	s_and_b32 s82, s82, 0xffffff                               // 00000000B5A0: 8652FF52 00FFFFFF
	s_mul_i32 s82, s82, s71                                    // 00000000B5A8: 92524752
	s_mul_i32 s61, s60, s61                                    // 00000000B5AC: 923D3D3C
	s_add_u32 s82, s82, s61                                    // 00000000B5B0: 80523D52
	v_mul_lo_u32 v6, v5, s82                                   // 00000000B5B4: D2850006 0000A505
	v_readlane_b32 s82, v3, 7                                  // 00000000B5BC: D2890052 00010F03
	s_lshr_b32 s61, s82, 24                                    // 00000000B5C4: 8F3D9852
	s_and_b32 s82, s82, 0xffffff                               // 00000000B5C8: 8652FF52 00FFFFFF
	s_mul_i32 s82, s82, s71                                    // 00000000B5D0: 92524752
	s_mul_i32 s61, s60, s61                                    // 00000000B5D4: 923D3D3C
	s_add_u32 s82, s82, s61                                    // 00000000B5D8: 80523D52
	v_mul_lo_u32 v7, v4, s82                                   // 00000000B5DC: D2850007 0000A504
	v_add_u32_e32 v69, v6, v7                                  // 00000000B5E4: 688A0F06
	v_readlane_b32 s82, v3, 8                                  // 00000000B5E8: D2890052 00011103
	s_lshr_b32 s61, s82, 24                                    // 00000000B5F0: 8F3D9852
	s_and_b32 s82, s82, 0xffffff                               // 00000000B5F4: 8652FF52 00FFFFFF
	s_mul_i32 s82, s82, s71                                    // 00000000B5FC: 92524752
	s_mul_i32 s61, s60, s61                                    // 00000000B600: 923D3D3C
	s_add_u32 s82, s82, s61                                    // 00000000B604: 80523D52
	v_mul_lo_u32 v6, v5, s82                                   // 00000000B608: D2850006 0000A505
	v_readlane_b32 s82, v3, 9                                  // 00000000B610: D2890052 00011303
	s_lshr_b32 s61, s82, 24                                    // 00000000B618: 8F3D9852
	s_and_b32 s82, s82, 0xffffff                               // 00000000B61C: 8652FF52 00FFFFFF
	s_mul_i32 s82, s82, s71                                    // 00000000B624: 92524752
	s_mul_i32 s61, s60, s61                                    // 00000000B628: 923D3D3C
	s_add_u32 s82, s82, s61                                    // 00000000B62C: 80523D52
	v_mul_lo_u32 v7, v4, s82                                   // 00000000B630: D2850007 0000A504
	v_add_u32_e32 v70, v6, v7                                  // 00000000B638: 688C0F06
	v_readlane_b32 s82, v3, 10                                 // 00000000B63C: D2890052 00011503
	s_lshr_b32 s61, s82, 24                                    // 00000000B644: 8F3D9852
	s_and_b32 s82, s82, 0xffffff                               // 00000000B648: 8652FF52 00FFFFFF
	s_mul_i32 s82, s82, s71                                    // 00000000B650: 92524752
	s_mul_i32 s61, s60, s61                                    // 00000000B654: 923D3D3C
	s_add_u32 s82, s82, s61                                    // 00000000B658: 80523D52
	v_mul_lo_u32 v6, v5, s82                                   // 00000000B65C: D2850006 0000A505
	v_readlane_b32 s82, v3, 11                                 // 00000000B664: D2890052 00011703
	s_lshr_b32 s61, s82, 24                                    // 00000000B66C: 8F3D9852
	s_and_b32 s82, s82, 0xffffff                               // 00000000B670: 8652FF52 00FFFFFF
	s_mul_i32 s82, s82, s71                                    // 00000000B678: 92524752
	s_mul_i32 s61, s60, s61                                    // 00000000B67C: 923D3D3C
	s_add_u32 s82, s82, s61                                    // 00000000B680: 80523D52
	v_mul_lo_u32 v7, v4, s82                                   // 00000000B684: D2850007 0000A504
	v_add_u32_e32 v71, v6, v7                                  // 00000000B68C: 688E0F06
	v_readlane_b32 s82, v3, 12                                 // 00000000B690: D2890052 00011903
	s_lshr_b32 s61, s82, 24                                    // 00000000B698: 8F3D9852
	s_and_b32 s82, s82, 0xffffff                               // 00000000B69C: 8652FF52 00FFFFFF
	s_mul_i32 s82, s82, s71                                    // 00000000B6A4: 92524752
	s_mul_i32 s61, s60, s61                                    // 00000000B6A8: 923D3D3C
	s_add_u32 s82, s82, s61                                    // 00000000B6AC: 80523D52
	v_mul_lo_u32 v6, v5, s82                                   // 00000000B6B0: D2850006 0000A505
	v_readlane_b32 s82, v3, 13                                 // 00000000B6B8: D2890052 00011B03
	s_lshr_b32 s61, s82, 24                                    // 00000000B6C0: 8F3D9852
	s_and_b32 s82, s82, 0xffffff                               // 00000000B6C4: 8652FF52 00FFFFFF
	s_mul_i32 s82, s82, s71                                    // 00000000B6CC: 92524752
	s_mul_i32 s61, s60, s61                                    // 00000000B6D0: 923D3D3C
	s_add_u32 s82, s82, s61                                    // 00000000B6D4: 80523D52
	v_mul_lo_u32 v7, v4, s82                                   // 00000000B6D8: D2850007 0000A504
	v_add_u32_e32 v72, v6, v7                                  // 00000000B6E0: 68900F06
	v_readlane_b32 s82, v3, 14                                 // 00000000B6E4: D2890052 00011D03
	s_lshr_b32 s61, s82, 24                                    // 00000000B6EC: 8F3D9852
	s_and_b32 s82, s82, 0xffffff                               // 00000000B6F0: 8652FF52 00FFFFFF
	s_mul_i32 s82, s82, s71                                    // 00000000B6F8: 92524752
	s_mul_i32 s61, s60, s61                                    // 00000000B6FC: 923D3D3C
	s_add_u32 s82, s82, s61                                    // 00000000B700: 80523D52
	v_mul_lo_u32 v6, v5, s82                                   // 00000000B704: D2850006 0000A505
	v_readlane_b32 s82, v3, 15                                 // 00000000B70C: D2890052 00011F03
	s_lshr_b32 s61, s82, 24                                    // 00000000B714: 8F3D9852
	s_and_b32 s82, s82, 0xffffff                               // 00000000B718: 8652FF52 00FFFFFF
	s_mul_i32 s82, s82, s71                                    // 00000000B720: 92524752
	s_mul_i32 s61, s60, s61                                    // 00000000B724: 923D3D3C
	s_add_u32 s82, s82, s61                                    // 00000000B728: 80523D52
	v_mul_lo_u32 v7, v4, s82                                   // 00000000B72C: D2850007 0000A504
	v_add_u32_e32 v73, v6, v7                                  // 00000000B734: 68920F06
	v_readlane_b32 s82, v3, 16                                 // 00000000B738: D2890052 00012103
	s_lshr_b32 s61, s82, 24                                    // 00000000B740: 8F3D9852
	s_and_b32 s82, s82, 0xffffff                               // 00000000B744: 8652FF52 00FFFFFF
	s_mul_i32 s82, s82, s71                                    // 00000000B74C: 92524752
	s_mul_i32 s61, s60, s61                                    // 00000000B750: 923D3D3C
	s_add_u32 s82, s82, s61                                    // 00000000B754: 80523D52
	v_mul_lo_u32 v6, v5, s82                                   // 00000000B758: D2850006 0000A505
	v_readlane_b32 s82, v3, 17                                 // 00000000B760: D2890052 00012303
	s_lshr_b32 s61, s82, 24                                    // 00000000B768: 8F3D9852
	s_and_b32 s82, s82, 0xffffff                               // 00000000B76C: 8652FF52 00FFFFFF
	s_mul_i32 s82, s82, s71                                    // 00000000B774: 92524752
	s_mul_i32 s61, s60, s61                                    // 00000000B778: 923D3D3C
	s_add_u32 s82, s82, s61                                    // 00000000B77C: 80523D52
	v_mul_lo_u32 v7, v4, s82                                   // 00000000B780: D2850007 0000A504
	v_add_u32_e32 v74, v6, v7                                  // 00000000B788: 68940F06
	v_readlane_b32 s82, v3, 18                                 // 00000000B78C: D2890052 00012503
	s_lshr_b32 s61, s82, 24                                    // 00000000B794: 8F3D9852
	s_and_b32 s82, s82, 0xffffff                               // 00000000B798: 8652FF52 00FFFFFF
	s_mul_i32 s82, s82, s71                                    // 00000000B7A0: 92524752
	s_mul_i32 s61, s60, s61                                    // 00000000B7A4: 923D3D3C
	s_add_u32 s82, s82, s61                                    // 00000000B7A8: 80523D52
	v_mul_lo_u32 v6, v5, s82                                   // 00000000B7AC: D2850006 0000A505
	v_readlane_b32 s82, v3, 19                                 // 00000000B7B4: D2890052 00012703
	s_lshr_b32 s61, s82, 24                                    // 00000000B7BC: 8F3D9852
	s_and_b32 s82, s82, 0xffffff                               // 00000000B7C0: 8652FF52 00FFFFFF
	s_mul_i32 s82, s82, s71                                    // 00000000B7C8: 92524752
	s_mul_i32 s61, s60, s61                                    // 00000000B7CC: 923D3D3C
	s_add_u32 s82, s82, s61                                    // 00000000B7D0: 80523D52
	v_mul_lo_u32 v7, v4, s82                                   // 00000000B7D4: D2850007 0000A504
	v_add_u32_e32 v75, v6, v7                                  // 00000000B7DC: 68960F06
	v_readlane_b32 s82, v3, 20                                 // 00000000B7E0: D2890052 00012903
	s_lshr_b32 s61, s82, 24                                    // 00000000B7E8: 8F3D9852
	s_and_b32 s82, s82, 0xffffff                               // 00000000B7EC: 8652FF52 00FFFFFF
	s_mul_i32 s82, s82, s71                                    // 00000000B7F4: 92524752
	s_mul_i32 s61, s60, s61                                    // 00000000B7F8: 923D3D3C
	s_add_u32 s82, s82, s61                                    // 00000000B7FC: 80523D52
	v_mul_lo_u32 v6, v5, s82                                   // 00000000B800: D2850006 0000A505
	v_readlane_b32 s82, v3, 21                                 // 00000000B808: D2890052 00012B03
	s_lshr_b32 s61, s82, 24                                    // 00000000B810: 8F3D9852
	s_and_b32 s82, s82, 0xffffff                               // 00000000B814: 8652FF52 00FFFFFF
	s_mul_i32 s82, s82, s71                                    // 00000000B81C: 92524752
	s_mul_i32 s61, s60, s61                                    // 00000000B820: 923D3D3C
	s_add_u32 s82, s82, s61                                    // 00000000B824: 80523D52
	v_mul_lo_u32 v7, v4, s82                                   // 00000000B828: D2850007 0000A504
	v_add_u32_e32 v76, v6, v7                                  // 00000000B830: 68980F06
	v_readlane_b32 s82, v3, 22                                 // 00000000B834: D2890052 00012D03
	s_lshr_b32 s61, s82, 24                                    // 00000000B83C: 8F3D9852
	s_and_b32 s82, s82, 0xffffff                               // 00000000B840: 8652FF52 00FFFFFF
	s_mul_i32 s82, s82, s71                                    // 00000000B848: 92524752
	s_mul_i32 s61, s60, s61                                    // 00000000B84C: 923D3D3C
	s_add_u32 s82, s82, s61                                    // 00000000B850: 80523D52
	v_mul_lo_u32 v6, v5, s82                                   // 00000000B854: D2850006 0000A505
	v_readlane_b32 s82, v3, 23                                 // 00000000B85C: D2890052 00012F03
	s_lshr_b32 s61, s82, 24                                    // 00000000B864: 8F3D9852
	s_and_b32 s82, s82, 0xffffff                               // 00000000B868: 8652FF52 00FFFFFF
	s_mul_i32 s82, s82, s71                                    // 00000000B870: 92524752
	s_mul_i32 s61, s60, s61                                    // 00000000B874: 923D3D3C
	s_add_u32 s82, s82, s61                                    // 00000000B878: 80523D52
	v_mul_lo_u32 v7, v4, s82                                   // 00000000B87C: D2850007 0000A504
	v_add_u32_e32 v77, v6, v7                                  // 00000000B884: 689A0F06
	v_readlane_b32 s82, v3, 24                                 // 00000000B888: D2890052 00013103
	s_lshr_b32 s61, s82, 24                                    // 00000000B890: 8F3D9852
	s_and_b32 s82, s82, 0xffffff                               // 00000000B894: 8652FF52 00FFFFFF
	s_mul_i32 s82, s82, s71                                    // 00000000B89C: 92524752
	s_mul_i32 s61, s60, s61                                    // 00000000B8A0: 923D3D3C
	s_add_u32 s82, s82, s61                                    // 00000000B8A4: 80523D52
	v_mul_lo_u32 v6, v5, s82                                   // 00000000B8A8: D2850006 0000A505
	v_readlane_b32 s82, v3, 25                                 // 00000000B8B0: D2890052 00013303
	s_lshr_b32 s61, s82, 24                                    // 00000000B8B8: 8F3D9852
	s_and_b32 s82, s82, 0xffffff                               // 00000000B8BC: 8652FF52 00FFFFFF
	s_mul_i32 s82, s82, s71                                    // 00000000B8C4: 92524752
	s_mul_i32 s61, s60, s61                                    // 00000000B8C8: 923D3D3C
	s_add_u32 s82, s82, s61                                    // 00000000B8CC: 80523D52
	v_mul_lo_u32 v7, v4, s82                                   // 00000000B8D0: D2850007 0000A504
	v_add_u32_e32 v78, v6, v7                                  // 00000000B8D8: 689C0F06
	v_readlane_b32 s82, v3, 26                                 // 00000000B8DC: D2890052 00013503
	s_lshr_b32 s61, s82, 24                                    // 00000000B8E4: 8F3D9852
	s_and_b32 s82, s82, 0xffffff                               // 00000000B8E8: 8652FF52 00FFFFFF
	s_mul_i32 s82, s82, s71                                    // 00000000B8F0: 92524752
	s_mul_i32 s61, s60, s61                                    // 00000000B8F4: 923D3D3C
	s_add_u32 s82, s82, s61                                    // 00000000B8F8: 80523D52
	v_mul_lo_u32 v6, v5, s82                                   // 00000000B8FC: D2850006 0000A505
	v_readlane_b32 s82, v3, 27                                 // 00000000B904: D2890052 00013703
	s_lshr_b32 s61, s82, 24                                    // 00000000B90C: 8F3D9852
	s_and_b32 s82, s82, 0xffffff                               // 00000000B910: 8652FF52 00FFFFFF
	s_mul_i32 s82, s82, s71                                    // 00000000B918: 92524752
	s_mul_i32 s61, s60, s61                                    // 00000000B91C: 923D3D3C
	s_add_u32 s82, s82, s61                                    // 00000000B920: 80523D52
	v_mul_lo_u32 v7, v4, s82                                   // 00000000B924: D2850007 0000A504
	v_add_u32_e32 v79, v6, v7                                  // 00000000B92C: 689E0F06
	v_readlane_b32 s82, v3, 28                                 // 00000000B930: D2890052 00013903
	s_lshr_b32 s61, s82, 24                                    // 00000000B938: 8F3D9852
	s_and_b32 s82, s82, 0xffffff                               // 00000000B93C: 8652FF52 00FFFFFF
	s_mul_i32 s82, s82, s71                                    // 00000000B944: 92524752
	s_mul_i32 s61, s60, s61                                    // 00000000B948: 923D3D3C
	s_add_u32 s82, s82, s61                                    // 00000000B94C: 80523D52
	v_mul_lo_u32 v6, v5, s82                                   // 00000000B950: D2850006 0000A505
	v_readlane_b32 s82, v3, 29                                 // 00000000B958: D2890052 00013B03
	s_lshr_b32 s61, s82, 24                                    // 00000000B960: 8F3D9852
	s_and_b32 s82, s82, 0xffffff                               // 00000000B964: 8652FF52 00FFFFFF
	s_mul_i32 s82, s82, s71                                    // 00000000B96C: 92524752
	s_mul_i32 s61, s60, s61                                    // 00000000B970: 923D3D3C
	s_add_u32 s82, s82, s61                                    // 00000000B974: 80523D52
	v_mul_lo_u32 v7, v4, s82                                   // 00000000B978: D2850007 0000A504
	v_add_u32_e32 v80, v6, v7                                  // 00000000B980: 68A00F06
	v_readlane_b32 s82, v3, 30                                 // 00000000B984: D2890052 00013D03
	s_lshr_b32 s61, s82, 24                                    // 00000000B98C: 8F3D9852
	s_and_b32 s82, s82, 0xffffff                               // 00000000B990: 8652FF52 00FFFFFF
	s_mul_i32 s82, s82, s71                                    // 00000000B998: 92524752
	s_mul_i32 s61, s60, s61                                    // 00000000B99C: 923D3D3C
	s_add_u32 s82, s82, s61                                    // 00000000B9A0: 80523D52
	v_mul_lo_u32 v6, v5, s82                                   // 00000000B9A4: D2850006 0000A505
	v_readlane_b32 s82, v3, 31                                 // 00000000B9AC: D2890052 00013F03
	s_lshr_b32 s61, s82, 24                                    // 00000000B9B4: 8F3D9852
	s_and_b32 s82, s82, 0xffffff                               // 00000000B9B8: 8652FF52 00FFFFFF
	s_mul_i32 s82, s82, s71                                    // 00000000B9C0: 92524752
	s_mul_i32 s61, s60, s61                                    // 00000000B9C4: 923D3D3C
	s_add_u32 s82, s82, s61                                    // 00000000B9C8: 80523D52
	v_mul_lo_u32 v7, v4, s82                                   // 00000000B9CC: D2850007 0000A504
	v_add_u32_e32 v81, v6, v7                                  // 00000000B9D4: 68A20F06
	v_readlane_b32 s82, v3, 32                                 // 00000000B9D8: D2890052 00014103
	s_lshr_b32 s61, s82, 24                                    // 00000000B9E0: 8F3D9852
	s_and_b32 s82, s82, 0xffffff                               // 00000000B9E4: 8652FF52 00FFFFFF
	s_mul_i32 s82, s82, s71                                    // 00000000B9EC: 92524752
	s_mul_i32 s61, s60, s61                                    // 00000000B9F0: 923D3D3C
	s_add_u32 s82, s82, s61                                    // 00000000B9F4: 80523D52
	v_mul_lo_u32 v6, v5, s82                                   // 00000000B9F8: D2850006 0000A505
	v_readlane_b32 s82, v3, 33                                 // 00000000BA00: D2890052 00014303
	s_lshr_b32 s61, s82, 24                                    // 00000000BA08: 8F3D9852
	s_and_b32 s82, s82, 0xffffff                               // 00000000BA0C: 8652FF52 00FFFFFF
	s_mul_i32 s82, s82, s71                                    // 00000000BA14: 92524752
	s_mul_i32 s61, s60, s61                                    // 00000000BA18: 923D3D3C
	s_add_u32 s82, s82, s61                                    // 00000000BA1C: 80523D52
	v_mul_lo_u32 v7, v4, s82                                   // 00000000BA20: D2850007 0000A504
	v_add_u32_e32 v82, v6, v7                                  // 00000000BA28: 68A40F06
	v_readlane_b32 s82, v3, 34                                 // 00000000BA2C: D2890052 00014503
	s_lshr_b32 s61, s82, 24                                    // 00000000BA34: 8F3D9852
	s_and_b32 s82, s82, 0xffffff                               // 00000000BA38: 8652FF52 00FFFFFF
	s_mul_i32 s82, s82, s71                                    // 00000000BA40: 92524752
	s_mul_i32 s61, s60, s61                                    // 00000000BA44: 923D3D3C
	s_add_u32 s82, s82, s61                                    // 00000000BA48: 80523D52
	v_mul_lo_u32 v6, v5, s82                                   // 00000000BA4C: D2850006 0000A505
	v_readlane_b32 s82, v3, 35                                 // 00000000BA54: D2890052 00014703
	s_lshr_b32 s61, s82, 24                                    // 00000000BA5C: 8F3D9852
	s_and_b32 s82, s82, 0xffffff                               // 00000000BA60: 8652FF52 00FFFFFF
	s_mul_i32 s82, s82, s71                                    // 00000000BA68: 92524752
	s_mul_i32 s61, s60, s61                                    // 00000000BA6C: 923D3D3C
	s_add_u32 s82, s82, s61                                    // 00000000BA70: 80523D52
	v_mul_lo_u32 v7, v4, s82                                   // 00000000BA74: D2850007 0000A504
	v_add_u32_e32 v83, v6, v7                                  // 00000000BA7C: 68A60F06
	v_and_b32_e32 v4, 31, v0                                   // 00000000BA80: 2608009F
	v_lshrrev_b32_e32 v4, 1, v4                                // 00000000BA84: 20080881
	s_cmp_eq_u32 s88, 0                                        // 00000000BA88: BF068058
	s_cselect_b32 s61, 2, 4                                    // 00000000BA8C: 853D8482
	v_mul_lo_u32 v4, v4, s61                                   // 00000000BA90: D2850004 00007B04
	v_and_b32_e64 v5, v0, 1                                    // 00000000BA98: D1130005 00010300
	v_add_u32_e32 v4, v4, v5                                   // 00000000BAA0: 68080B04
	v_lshlrev_b32_e32 v4, 2, v4                                // 00000000BAA4: 24080882
	v_add_u32_e32 v66, v66, v4                                 // 00000000BAA8: 68840942
	v_add_u32_e32 v67, v67, v4                                 // 00000000BAAC: 68860943
	v_add_u32_e32 v68, v68, v4                                 // 00000000BAB0: 68880944
	v_add_u32_e32 v69, v69, v4                                 // 00000000BAB4: 688A0945
	v_add_u32_e32 v70, v70, v4                                 // 00000000BAB8: 688C0946
	v_add_u32_e32 v71, v71, v4                                 // 00000000BABC: 688E0947
	v_add_u32_e32 v72, v72, v4                                 // 00000000BAC0: 68900948
	v_add_u32_e32 v73, v73, v4                                 // 00000000BAC4: 68920949
	v_add_u32_e32 v74, v74, v4                                 // 00000000BAC8: 6894094A
	v_add_u32_e32 v75, v75, v4                                 // 00000000BACC: 6896094B
	v_add_u32_e32 v76, v76, v4                                 // 00000000BAD0: 6898094C
	v_add_u32_e32 v77, v77, v4                                 // 00000000BAD4: 689A094D
	v_add_u32_e32 v78, v78, v4                                 // 00000000BAD8: 689C094E
	v_add_u32_e32 v79, v79, v4                                 // 00000000BADC: 689E094F
	v_add_u32_e32 v80, v80, v4                                 // 00000000BAE0: 68A00950
	v_add_u32_e32 v81, v81, v4                                 // 00000000BAE4: 68A20951
	v_add_u32_e32 v82, v82, v4                                 // 00000000BAE8: 68A40952
	v_add_u32_e32 v83, v83, v4                                 // 00000000BAEC: 68A60953
	s_waitcnt lgkmcnt(0)                                       // 00000000BAF0: BF8CC07F
	s_barrier                                                  // 00000000BAF4: BF8A0000
	ds_read_b32 v88, v21                                       // 00000000BAF8: D86C0000 58000015
	ds_read_b32 v89, v21 offset:64                             // 00000000BB00: D86C0040 59000015
	ds_read_b32 v92, v21 offset:2176                           // 00000000BB08: D86C0880 5C000015
	ds_read_b32 v93, v21 offset:2240                           // 00000000BB10: D86C08C0 5D000015
	ds_read_b32 v96, v21 offset:4352                           // 00000000BB18: D86C1100 60000015
	ds_read_b32 v97, v21 offset:4416                           // 00000000BB20: D86C1140 61000015
	ds_read_b32 v100, v21 offset:6528                          // 00000000BB28: D86C1980 64000015
	ds_read_b32 v101, v21 offset:6592                          // 00000000BB30: D86C19C0 65000015
	ds_read_b32 v104, v21 offset:8704                          // 00000000BB38: D86C2200 68000015
	ds_read_b32 v105, v21 offset:8768                          // 00000000BB40: D86C2240 69000015
	ds_read_b32 v108, v21 offset:10880                         // 00000000BB48: D86C2A80 6C000015
	ds_read_b32 v109, v21 offset:10944                         // 00000000BB50: D86C2AC0 6D000015
	ds_read_b32 v112, v21 offset:13056                         // 00000000BB58: D86C3300 70000015
	ds_read_b32 v113, v21 offset:13120                         // 00000000BB60: D86C3340 71000015
	ds_read_b32 v116, v21 offset:15232                         // 00000000BB68: D86C3B80 74000015
	ds_read_b32 v117, v21 offset:15296                         // 00000000BB70: D86C3BC0 75000015
	ds_read_b32 v120, v21 offset:17408                         // 00000000BB78: D86C4400 78000015
	ds_read_b32 v121, v21 offset:17472                         // 00000000BB80: D86C4440 79000015
	ds_read_b32 v124, v21 offset:19584                         // 00000000BB88: D86C4C80 7C000015
	ds_read_b32 v125, v21 offset:19648                         // 00000000BB90: D86C4CC0 7D000015
	ds_read_b32 v128, v21 offset:21760                         // 00000000BB98: D86C5500 80000015
	ds_read_b32 v129, v21 offset:21824                         // 00000000BBA0: D86C5540 81000015
	ds_read_b32 v132, v21 offset:23936                         // 00000000BBA8: D86C5D80 84000015
	ds_read_b32 v133, v21 offset:24000                         // 00000000BBB0: D86C5DC0 85000015
	ds_read_b32 v136, v21 offset:26112                         // 00000000BBB8: D86C6600 88000015
	ds_read_b32 v137, v21 offset:26176                         // 00000000BBC0: D86C6640 89000015
	ds_read_b32 v140, v21 offset:28288                         // 00000000BBC8: D86C6E80 8C000015
	ds_read_b32 v141, v21 offset:28352                         // 00000000BBD0: D86C6EC0 8D000015
	ds_read_b32 v144, v21 offset:30464                         // 00000000BBD8: D86C7700 90000015
	ds_read_b32 v145, v21 offset:30528                         // 00000000BBE0: D86C7740 91000015
	ds_read_b32 v148, v21 offset:32640                         // 00000000BBE8: D86C7F80 94000015
	ds_read_b32 v149, v21 offset:32704                         // 00000000BBF0: D86C7FC0 95000015
	ds_read_b32 v152, v21 offset:34816                         // 00000000BBF8: D86C8800 98000015
	ds_read_b32 v153, v21 offset:34880                         // 00000000BC00: D86C8840 99000015
	ds_read_b32 v156, v21 offset:36992                         // 00000000BC08: D86C9080 9C000015
	ds_read_b32 v157, v21 offset:37056                         // 00000000BC10: D86C90C0 9D000015
	s_waitcnt lgkmcnt(0)                                       // 00000000BC18: BF8CC07F
	s_mov_b32 s36, -1                                          // 00000000BC1C: BEA400C1
	s_mov_b32 s37, -1                                          // 00000000BC20: BEA500C1
	v_mov_b32_e32 v7, 0                                        // 00000000BC24: 7E0E0280
	s_mov_b64 exec, s[36:37]                                   // 00000000BC28: BEFE0124
	v_mov_b32_e32 v6, v66                                      // 00000000BC2C: 7E0C0342
	s_mov_b64 s[60:61], 0                                      // 00000000BC30: BEBC0180
	v_readlane_b32 s82, v3, 0                                  // 00000000BC34: D2890052 00010103
	s_and_b32 s82, s82, 0xffffff                               // 00000000BC3C: 8652FF52 00FFFFFF
	s_cmp_lt_u32 s82, s66                                      // 00000000BC44: BF0A4252
	s_cselect_b32 s20, s36, s60                                // 00000000BC48: 85143C24
	v_readlane_b32 s82, v3, 1                                  // 00000000BC4C: D2890052 00010303
	s_and_b32 s82, s82, 0xffffff                               // 00000000BC54: 8652FF52 00FFFFFF
	s_cmp_lt_u32 s82, s66                                      // 00000000BC5C: BF0A4252
	s_cselect_b32 s21, s36, s60                                // 00000000BC60: 85153C24
	s_mov_b64 exec, s[20:21]                                   // 00000000BC64: BEFE0114
	global_atomic_add_f32 v6, v88, s[8:9]                      // 00000000BC68: DD348000 00085806
	global_atomic_add_f32 v6, v92, s[8:9] offset:256           // 00000000BC70: DD348100 00085C06
	s_mov_b64 exec, s[36:37]                                   // 00000000BC78: BEFE0124
	v_mov_b32_e32 v6, v67                                      // 00000000BC7C: 7E0C0343
	s_mov_b64 s[60:61], 0                                      // 00000000BC80: BEBC0180
	v_readlane_b32 s82, v3, 2                                  // 00000000BC84: D2890052 00010503
	s_and_b32 s82, s82, 0xffffff                               // 00000000BC8C: 8652FF52 00FFFFFF
	s_cmp_lt_u32 s82, s66                                      // 00000000BC94: BF0A4252
	s_cselect_b32 s20, s36, s60                                // 00000000BC98: 85143C24
	v_readlane_b32 s82, v3, 3                                  // 00000000BC9C: D2890052 00010703
	s_and_b32 s82, s82, 0xffffff                               // 00000000BCA4: 8652FF52 00FFFFFF
	s_cmp_lt_u32 s82, s66                                      // 00000000BCAC: BF0A4252
	s_cselect_b32 s21, s36, s60                                // 00000000BCB0: 85153C24
	s_mov_b64 exec, s[20:21]                                   // 00000000BCB4: BEFE0114
	global_atomic_add_f32 v6, v89, s[8:9]                      // 00000000BCB8: DD348000 00085906
	global_atomic_add_f32 v6, v93, s[8:9] offset:256           // 00000000BCC0: DD348100 00085D06
	s_mov_b64 exec, s[36:37]                                   // 00000000BCC8: BEFE0124
	v_mov_b32_e32 v6, v68                                      // 00000000BCCC: 7E0C0344
	s_mov_b64 s[60:61], 0                                      // 00000000BCD0: BEBC0180
	v_readlane_b32 s82, v3, 4                                  // 00000000BCD4: D2890052 00010903
	s_and_b32 s82, s82, 0xffffff                               // 00000000BCDC: 8652FF52 00FFFFFF
	s_cmp_lt_u32 s82, s66                                      // 00000000BCE4: BF0A4252
	s_cselect_b32 s20, s36, s60                                // 00000000BCE8: 85143C24
	v_readlane_b32 s82, v3, 5                                  // 00000000BCEC: D2890052 00010B03
	s_and_b32 s82, s82, 0xffffff                               // 00000000BCF4: 8652FF52 00FFFFFF
	s_cmp_lt_u32 s82, s66                                      // 00000000BCFC: BF0A4252
	s_cselect_b32 s21, s36, s60                                // 00000000BD00: 85153C24
	s_mov_b64 exec, s[20:21]                                   // 00000000BD04: BEFE0114
	global_atomic_add_f32 v6, v96, s[8:9]                      // 00000000BD08: DD348000 00086006
	global_atomic_add_f32 v6, v100, s[8:9] offset:256          // 00000000BD10: DD348100 00086406
	s_mov_b64 exec, s[36:37]                                   // 00000000BD18: BEFE0124
	v_mov_b32_e32 v6, v69                                      // 00000000BD1C: 7E0C0345
	s_mov_b64 s[60:61], 0                                      // 00000000BD20: BEBC0180
	v_readlane_b32 s82, v3, 6                                  // 00000000BD24: D2890052 00010D03
	s_and_b32 s82, s82, 0xffffff                               // 00000000BD2C: 8652FF52 00FFFFFF
	s_cmp_lt_u32 s82, s66                                      // 00000000BD34: BF0A4252
	s_cselect_b32 s20, s36, s60                                // 00000000BD38: 85143C24
	v_readlane_b32 s82, v3, 7                                  // 00000000BD3C: D2890052 00010F03
	s_and_b32 s82, s82, 0xffffff                               // 00000000BD44: 8652FF52 00FFFFFF
	s_cmp_lt_u32 s82, s66                                      // 00000000BD4C: BF0A4252
	s_cselect_b32 s21, s36, s60                                // 00000000BD50: 85153C24
	s_mov_b64 exec, s[20:21]                                   // 00000000BD54: BEFE0114
	global_atomic_add_f32 v6, v97, s[8:9]                      // 00000000BD58: DD348000 00086106
	global_atomic_add_f32 v6, v101, s[8:9] offset:256          // 00000000BD60: DD348100 00086506
	s_mov_b64 exec, s[36:37]                                   // 00000000BD68: BEFE0124
	v_mov_b32_e32 v6, v70                                      // 00000000BD6C: 7E0C0346
	s_mov_b64 s[60:61], 0                                      // 00000000BD70: BEBC0180
	v_readlane_b32 s82, v3, 8                                  // 00000000BD74: D2890052 00011103
	s_and_b32 s82, s82, 0xffffff                               // 00000000BD7C: 8652FF52 00FFFFFF
	s_cmp_lt_u32 s82, s66                                      // 00000000BD84: BF0A4252
	s_cselect_b32 s20, s36, s60                                // 00000000BD88: 85143C24
	v_readlane_b32 s82, v3, 9                                  // 00000000BD8C: D2890052 00011303
	s_and_b32 s82, s82, 0xffffff                               // 00000000BD94: 8652FF52 00FFFFFF
	s_cmp_lt_u32 s82, s66                                      // 00000000BD9C: BF0A4252
	s_cselect_b32 s21, s36, s60                                // 00000000BDA0: 85153C24
	s_mov_b64 exec, s[20:21]                                   // 00000000BDA4: BEFE0114
	global_atomic_add_f32 v6, v104, s[8:9]                     // 00000000BDA8: DD348000 00086806
	global_atomic_add_f32 v6, v108, s[8:9] offset:256          // 00000000BDB0: DD348100 00086C06
	s_mov_b64 exec, s[36:37]                                   // 00000000BDB8: BEFE0124
	v_mov_b32_e32 v6, v71                                      // 00000000BDBC: 7E0C0347
	s_mov_b64 s[60:61], 0                                      // 00000000BDC0: BEBC0180
	v_readlane_b32 s82, v3, 10                                 // 00000000BDC4: D2890052 00011503
	s_and_b32 s82, s82, 0xffffff                               // 00000000BDCC: 8652FF52 00FFFFFF
	s_cmp_lt_u32 s82, s66                                      // 00000000BDD4: BF0A4252
	s_cselect_b32 s20, s36, s60                                // 00000000BDD8: 85143C24
	v_readlane_b32 s82, v3, 11                                 // 00000000BDDC: D2890052 00011703
	s_and_b32 s82, s82, 0xffffff                               // 00000000BDE4: 8652FF52 00FFFFFF
	s_cmp_lt_u32 s82, s66                                      // 00000000BDEC: BF0A4252
	s_cselect_b32 s21, s36, s60                                // 00000000BDF0: 85153C24
	s_mov_b64 exec, s[20:21]                                   // 00000000BDF4: BEFE0114
	global_atomic_add_f32 v6, v105, s[8:9]                     // 00000000BDF8: DD348000 00086906
	global_atomic_add_f32 v6, v109, s[8:9] offset:256          // 00000000BE00: DD348100 00086D06
	s_mov_b64 exec, s[36:37]                                   // 00000000BE08: BEFE0124
	v_mov_b32_e32 v6, v72                                      // 00000000BE0C: 7E0C0348
	s_mov_b64 s[60:61], 0                                      // 00000000BE10: BEBC0180
	v_readlane_b32 s82, v3, 12                                 // 00000000BE14: D2890052 00011903
	s_and_b32 s82, s82, 0xffffff                               // 00000000BE1C: 8652FF52 00FFFFFF
	s_cmp_lt_u32 s82, s66                                      // 00000000BE24: BF0A4252
	s_cselect_b32 s20, s36, s60                                // 00000000BE28: 85143C24
	v_readlane_b32 s82, v3, 13                                 // 00000000BE2C: D2890052 00011B03
	s_and_b32 s82, s82, 0xffffff                               // 00000000BE34: 8652FF52 00FFFFFF
	s_cmp_lt_u32 s82, s66                                      // 00000000BE3C: BF0A4252
	s_cselect_b32 s21, s36, s60                                // 00000000BE40: 85153C24
	s_mov_b64 exec, s[20:21]                                   // 00000000BE44: BEFE0114
	global_atomic_add_f32 v6, v112, s[8:9]                     // 00000000BE48: DD348000 00087006
	global_atomic_add_f32 v6, v116, s[8:9] offset:256          // 00000000BE50: DD348100 00087406
	s_mov_b64 exec, s[36:37]                                   // 00000000BE58: BEFE0124
	v_mov_b32_e32 v6, v73                                      // 00000000BE5C: 7E0C0349
	s_mov_b64 s[60:61], 0                                      // 00000000BE60: BEBC0180
	v_readlane_b32 s82, v3, 14                                 // 00000000BE64: D2890052 00011D03
	s_and_b32 s82, s82, 0xffffff                               // 00000000BE6C: 8652FF52 00FFFFFF
	s_cmp_lt_u32 s82, s66                                      // 00000000BE74: BF0A4252
	s_cselect_b32 s20, s36, s60                                // 00000000BE78: 85143C24
	v_readlane_b32 s82, v3, 15                                 // 00000000BE7C: D2890052 00011F03
	s_and_b32 s82, s82, 0xffffff                               // 00000000BE84: 8652FF52 00FFFFFF
	s_cmp_lt_u32 s82, s66                                      // 00000000BE8C: BF0A4252
	s_cselect_b32 s21, s36, s60                                // 00000000BE90: 85153C24
	s_mov_b64 exec, s[20:21]                                   // 00000000BE94: BEFE0114
	global_atomic_add_f32 v6, v113, s[8:9]                     // 00000000BE98: DD348000 00087106
	global_atomic_add_f32 v6, v117, s[8:9] offset:256          // 00000000BEA0: DD348100 00087506
	s_mov_b64 exec, s[36:37]                                   // 00000000BEA8: BEFE0124
	v_mov_b32_e32 v6, v74                                      // 00000000BEAC: 7E0C034A
	s_mov_b64 s[60:61], 0                                      // 00000000BEB0: BEBC0180
	v_readlane_b32 s82, v3, 16                                 // 00000000BEB4: D2890052 00012103
	s_and_b32 s82, s82, 0xffffff                               // 00000000BEBC: 8652FF52 00FFFFFF
	s_cmp_lt_u32 s82, s66                                      // 00000000BEC4: BF0A4252
	s_cselect_b32 s20, s36, s60                                // 00000000BEC8: 85143C24
	v_readlane_b32 s82, v3, 17                                 // 00000000BECC: D2890052 00012303
	s_and_b32 s82, s82, 0xffffff                               // 00000000BED4: 8652FF52 00FFFFFF
	s_cmp_lt_u32 s82, s66                                      // 00000000BEDC: BF0A4252
	s_cselect_b32 s21, s36, s60                                // 00000000BEE0: 85153C24
	s_mov_b64 exec, s[20:21]                                   // 00000000BEE4: BEFE0114
	global_atomic_add_f32 v6, v120, s[8:9]                     // 00000000BEE8: DD348000 00087806
	global_atomic_add_f32 v6, v124, s[8:9] offset:256          // 00000000BEF0: DD348100 00087C06
	s_mov_b64 exec, s[36:37]                                   // 00000000BEF8: BEFE0124
	v_mov_b32_e32 v6, v75                                      // 00000000BEFC: 7E0C034B
	s_mov_b64 s[60:61], 0                                      // 00000000BF00: BEBC0180
	v_readlane_b32 s82, v3, 18                                 // 00000000BF04: D2890052 00012503
	s_and_b32 s82, s82, 0xffffff                               // 00000000BF0C: 8652FF52 00FFFFFF
	s_cmp_lt_u32 s82, s66                                      // 00000000BF14: BF0A4252
	s_cselect_b32 s20, s36, s60                                // 00000000BF18: 85143C24
	v_readlane_b32 s82, v3, 19                                 // 00000000BF1C: D2890052 00012703
	s_and_b32 s82, s82, 0xffffff                               // 00000000BF24: 8652FF52 00FFFFFF
	s_cmp_lt_u32 s82, s66                                      // 00000000BF2C: BF0A4252
	s_cselect_b32 s21, s36, s60                                // 00000000BF30: 85153C24
	s_mov_b64 exec, s[20:21]                                   // 00000000BF34: BEFE0114
	global_atomic_add_f32 v6, v121, s[8:9]                     // 00000000BF38: DD348000 00087906
	global_atomic_add_f32 v6, v125, s[8:9] offset:256          // 00000000BF40: DD348100 00087D06
	s_mov_b64 exec, s[36:37]                                   // 00000000BF48: BEFE0124
	v_mov_b32_e32 v6, v76                                      // 00000000BF4C: 7E0C034C
	s_mov_b64 s[60:61], 0                                      // 00000000BF50: BEBC0180
	v_readlane_b32 s82, v3, 20                                 // 00000000BF54: D2890052 00012903
	s_and_b32 s82, s82, 0xffffff                               // 00000000BF5C: 8652FF52 00FFFFFF
	s_cmp_lt_u32 s82, s66                                      // 00000000BF64: BF0A4252
	s_cselect_b32 s20, s36, s60                                // 00000000BF68: 85143C24
	v_readlane_b32 s82, v3, 21                                 // 00000000BF6C: D2890052 00012B03
	s_and_b32 s82, s82, 0xffffff                               // 00000000BF74: 8652FF52 00FFFFFF
	s_cmp_lt_u32 s82, s66                                      // 00000000BF7C: BF0A4252
	s_cselect_b32 s21, s36, s60                                // 00000000BF80: 85153C24
	s_mov_b64 exec, s[20:21]                                   // 00000000BF84: BEFE0114
	global_atomic_add_f32 v6, v128, s[8:9]                     // 00000000BF88: DD348000 00088006
	global_atomic_add_f32 v6, v132, s[8:9] offset:256          // 00000000BF90: DD348100 00088406
	s_mov_b64 exec, s[36:37]                                   // 00000000BF98: BEFE0124
	v_mov_b32_e32 v6, v77                                      // 00000000BF9C: 7E0C034D
	s_mov_b64 s[60:61], 0                                      // 00000000BFA0: BEBC0180
	v_readlane_b32 s82, v3, 22                                 // 00000000BFA4: D2890052 00012D03
	s_and_b32 s82, s82, 0xffffff                               // 00000000BFAC: 8652FF52 00FFFFFF
	s_cmp_lt_u32 s82, s66                                      // 00000000BFB4: BF0A4252
	s_cselect_b32 s20, s36, s60                                // 00000000BFB8: 85143C24
	v_readlane_b32 s82, v3, 23                                 // 00000000BFBC: D2890052 00012F03
	s_and_b32 s82, s82, 0xffffff                               // 00000000BFC4: 8652FF52 00FFFFFF
	s_cmp_lt_u32 s82, s66                                      // 00000000BFCC: BF0A4252
	s_cselect_b32 s21, s36, s60                                // 00000000BFD0: 85153C24
	s_mov_b64 exec, s[20:21]                                   // 00000000BFD4: BEFE0114
	global_atomic_add_f32 v6, v129, s[8:9]                     // 00000000BFD8: DD348000 00088106
	global_atomic_add_f32 v6, v133, s[8:9] offset:256          // 00000000BFE0: DD348100 00088506
	s_mov_b64 exec, s[36:37]                                   // 00000000BFE8: BEFE0124
	v_mov_b32_e32 v6, v78                                      // 00000000BFEC: 7E0C034E
	s_mov_b64 s[60:61], 0                                      // 00000000BFF0: BEBC0180
	v_readlane_b32 s82, v3, 24                                 // 00000000BFF4: D2890052 00013103
	s_and_b32 s82, s82, 0xffffff                               // 00000000BFFC: 8652FF52 00FFFFFF
	s_cmp_lt_u32 s82, s66                                      // 00000000C004: BF0A4252
	s_cselect_b32 s20, s36, s60                                // 00000000C008: 85143C24
	v_readlane_b32 s82, v3, 25                                 // 00000000C00C: D2890052 00013303
	s_and_b32 s82, s82, 0xffffff                               // 00000000C014: 8652FF52 00FFFFFF
	s_cmp_lt_u32 s82, s66                                      // 00000000C01C: BF0A4252
	s_cselect_b32 s21, s36, s60                                // 00000000C020: 85153C24
	s_mov_b64 exec, s[20:21]                                   // 00000000C024: BEFE0114
	global_atomic_add_f32 v6, v136, s[8:9]                     // 00000000C028: DD348000 00088806
	global_atomic_add_f32 v6, v140, s[8:9] offset:256          // 00000000C030: DD348100 00088C06
	s_mov_b64 exec, s[36:37]                                   // 00000000C038: BEFE0124
	v_mov_b32_e32 v6, v79                                      // 00000000C03C: 7E0C034F
	s_mov_b64 s[60:61], 0                                      // 00000000C040: BEBC0180
	v_readlane_b32 s82, v3, 26                                 // 00000000C044: D2890052 00013503
	s_and_b32 s82, s82, 0xffffff                               // 00000000C04C: 8652FF52 00FFFFFF
	s_cmp_lt_u32 s82, s66                                      // 00000000C054: BF0A4252
	s_cselect_b32 s20, s36, s60                                // 00000000C058: 85143C24
	v_readlane_b32 s82, v3, 27                                 // 00000000C05C: D2890052 00013703
	s_and_b32 s82, s82, 0xffffff                               // 00000000C064: 8652FF52 00FFFFFF
	s_cmp_lt_u32 s82, s66                                      // 00000000C06C: BF0A4252
	s_cselect_b32 s21, s36, s60                                // 00000000C070: 85153C24
	s_mov_b64 exec, s[20:21]                                   // 00000000C074: BEFE0114
	global_atomic_add_f32 v6, v137, s[8:9]                     // 00000000C078: DD348000 00088906
	global_atomic_add_f32 v6, v141, s[8:9] offset:256          // 00000000C080: DD348100 00088D06
	s_mov_b64 exec, s[36:37]                                   // 00000000C088: BEFE0124
	v_mov_b32_e32 v6, v80                                      // 00000000C08C: 7E0C0350
	s_mov_b64 s[60:61], 0                                      // 00000000C090: BEBC0180
	v_readlane_b32 s82, v3, 28                                 // 00000000C094: D2890052 00013903
	s_and_b32 s82, s82, 0xffffff                               // 00000000C09C: 8652FF52 00FFFFFF
	s_cmp_lt_u32 s82, s66                                      // 00000000C0A4: BF0A4252
	s_cselect_b32 s20, s36, s60                                // 00000000C0A8: 85143C24
	v_readlane_b32 s82, v3, 29                                 // 00000000C0AC: D2890052 00013B03
	s_and_b32 s82, s82, 0xffffff                               // 00000000C0B4: 8652FF52 00FFFFFF
	s_cmp_lt_u32 s82, s66                                      // 00000000C0BC: BF0A4252
	s_cselect_b32 s21, s36, s60                                // 00000000C0C0: 85153C24
	s_mov_b64 exec, s[20:21]                                   // 00000000C0C4: BEFE0114
	global_atomic_add_f32 v6, v144, s[8:9]                     // 00000000C0C8: DD348000 00089006
	global_atomic_add_f32 v6, v148, s[8:9] offset:256          // 00000000C0D0: DD348100 00089406
	s_mov_b64 exec, s[36:37]                                   // 00000000C0D8: BEFE0124
	v_mov_b32_e32 v6, v81                                      // 00000000C0DC: 7E0C0351
	s_mov_b64 s[60:61], 0                                      // 00000000C0E0: BEBC0180
	v_readlane_b32 s82, v3, 30                                 // 00000000C0E4: D2890052 00013D03
	s_and_b32 s82, s82, 0xffffff                               // 00000000C0EC: 8652FF52 00FFFFFF
	s_cmp_lt_u32 s82, s66                                      // 00000000C0F4: BF0A4252
	s_cselect_b32 s20, s36, s60                                // 00000000C0F8: 85143C24
	v_readlane_b32 s82, v3, 31                                 // 00000000C0FC: D2890052 00013F03
	s_and_b32 s82, s82, 0xffffff                               // 00000000C104: 8652FF52 00FFFFFF
	s_cmp_lt_u32 s82, s66                                      // 00000000C10C: BF0A4252
	s_cselect_b32 s21, s36, s60                                // 00000000C110: 85153C24
	s_mov_b64 exec, s[20:21]                                   // 00000000C114: BEFE0114
	global_atomic_add_f32 v6, v145, s[8:9]                     // 00000000C118: DD348000 00089106
	global_atomic_add_f32 v6, v149, s[8:9] offset:256          // 00000000C120: DD348100 00089506
	s_mov_b64 exec, s[36:37]                                   // 00000000C128: BEFE0124
	v_mov_b32_e32 v6, v82                                      // 00000000C12C: 7E0C0352
	s_mov_b64 s[60:61], 0                                      // 00000000C130: BEBC0180
	v_readlane_b32 s82, v3, 32                                 // 00000000C134: D2890052 00014103
	s_and_b32 s82, s82, 0xffffff                               // 00000000C13C: 8652FF52 00FFFFFF
	s_cmp_lt_u32 s82, s66                                      // 00000000C144: BF0A4252
	s_cselect_b32 s20, s36, s60                                // 00000000C148: 85143C24
	v_readlane_b32 s82, v3, 33                                 // 00000000C14C: D2890052 00014303
	s_and_b32 s82, s82, 0xffffff                               // 00000000C154: 8652FF52 00FFFFFF
	s_cmp_lt_u32 s82, s66                                      // 00000000C15C: BF0A4252
	s_cselect_b32 s21, s36, s60                                // 00000000C160: 85153C24
	s_mov_b64 exec, s[20:21]                                   // 00000000C164: BEFE0114
	global_atomic_add_f32 v6, v152, s[8:9]                     // 00000000C168: DD348000 00089806
	global_atomic_add_f32 v6, v156, s[8:9] offset:256          // 00000000C170: DD348100 00089C06
	s_mov_b64 exec, s[36:37]                                   // 00000000C178: BEFE0124
	v_mov_b32_e32 v6, v83                                      // 00000000C17C: 7E0C0353
	s_mov_b64 s[60:61], 0                                      // 00000000C180: BEBC0180
	v_readlane_b32 s82, v3, 34                                 // 00000000C184: D2890052 00014503
	s_and_b32 s82, s82, 0xffffff                               // 00000000C18C: 8652FF52 00FFFFFF
	s_cmp_lt_u32 s82, s66                                      // 00000000C194: BF0A4252
	s_cselect_b32 s20, s36, s60                                // 00000000C198: 85143C24
	v_readlane_b32 s82, v3, 35                                 // 00000000C19C: D2890052 00014703
	s_and_b32 s82, s82, 0xffffff                               // 00000000C1A4: 8652FF52 00FFFFFF
	s_cmp_lt_u32 s82, s66                                      // 00000000C1AC: BF0A4252
	s_cselect_b32 s21, s36, s60                                // 00000000C1B0: 85153C24
	s_mov_b64 exec, s[20:21]                                   // 00000000C1B4: BEFE0114
	global_atomic_add_f32 v6, v153, s[8:9]                     // 00000000C1B8: DD348000 00089906
	global_atomic_add_f32 v6, v157, s[8:9] offset:256          // 00000000C1C0: DD348100 00089D06
	s_mov_b64 exec, s[36:37]                                   // 00000000C1C8: BEFE0124
	ds_write_b64 v20, v[90:91]                                 // 00000000C1CC: D89A0000 00005A14
	ds_write_b64 v20, v[94:95] offset:4352                     // 00000000C1D4: D89A1100 00005E14
	ds_write_b64 v20, v[98:99] offset:8704                     // 00000000C1DC: D89A2200 00006214
	ds_write_b64 v20, v[102:103] offset:13056                  // 00000000C1E4: D89A3300 00006614
	ds_write_b64 v20, v[106:107] offset:17408                  // 00000000C1EC: D89A4400 00006A14
	ds_write_b64 v20, v[110:111] offset:21760                  // 00000000C1F4: D89A5500 00006E14
	ds_write_b64 v20, v[114:115] offset:26112                  // 00000000C1FC: D89A6600 00007214
	ds_write_b64 v20, v[118:119] offset:30464                  // 00000000C204: D89A7700 00007614
	ds_write_b64 v20, v[122:123] offset:34816                  // 00000000C20C: D89A8800 00007A14
	ds_write_b64 v20, v[126:127] offset:2176                   // 00000000C214: D89A0880 00007E14
	ds_write_b64 v20, v[130:131] offset:6528                   // 00000000C21C: D89A1980 00008214
	ds_write_b64 v20, v[134:135] offset:10880                  // 00000000C224: D89A2A80 00008614
	ds_write_b64 v20, v[138:139] offset:15232                  // 00000000C22C: D89A3B80 00008A14
	ds_write_b64 v20, v[142:143] offset:19584                  // 00000000C234: D89A4C80 00008E14
	ds_write_b64 v20, v[146:147] offset:23936                  // 00000000C23C: D89A5D80 00009214
	ds_write_b64 v20, v[150:151] offset:28288                  // 00000000C244: D89A6E80 00009614
	ds_write_b64 v20, v[154:155] offset:32640                  // 00000000C24C: D89A7F80 00009A14
	ds_write_b64 v20, v[158:159] offset:36992                  // 00000000C254: D89A9080 00009E14
	s_waitcnt lgkmcnt(0)                                       // 00000000C25C: BF8CC07F
	s_barrier                                                  // 00000000C260: BF8A0000
	ds_read_b32 v90, v21                                       // 00000000C264: D86C0000 5A000015
	ds_read_b32 v91, v21 offset:64                             // 00000000C26C: D86C0040 5B000015
	ds_read_b32 v94, v21 offset:2176                           // 00000000C274: D86C0880 5E000015
	ds_read_b32 v95, v21 offset:2240                           // 00000000C27C: D86C08C0 5F000015
	ds_read_b32 v98, v21 offset:4352                           // 00000000C284: D86C1100 62000015
	ds_read_b32 v99, v21 offset:4416                           // 00000000C28C: D86C1140 63000015
	ds_read_b32 v102, v21 offset:6528                          // 00000000C294: D86C1980 66000015
	ds_read_b32 v103, v21 offset:6592                          // 00000000C29C: D86C19C0 67000015
	ds_read_b32 v106, v21 offset:8704                          // 00000000C2A4: D86C2200 6A000015
	ds_read_b32 v107, v21 offset:8768                          // 00000000C2AC: D86C2240 6B000015
	ds_read_b32 v110, v21 offset:10880                         // 00000000C2B4: D86C2A80 6E000015
	ds_read_b32 v111, v21 offset:10944                         // 00000000C2BC: D86C2AC0 6F000015
	ds_read_b32 v114, v21 offset:13056                         // 00000000C2C4: D86C3300 72000015
	ds_read_b32 v115, v21 offset:13120                         // 00000000C2CC: D86C3340 73000015
	ds_read_b32 v118, v21 offset:15232                         // 00000000C2D4: D86C3B80 76000015
	ds_read_b32 v119, v21 offset:15296                         // 00000000C2DC: D86C3BC0 77000015
	ds_read_b32 v122, v21 offset:17408                         // 00000000C2E4: D86C4400 7A000015
	ds_read_b32 v123, v21 offset:17472                         // 00000000C2EC: D86C4440 7B000015
	ds_read_b32 v126, v21 offset:19584                         // 00000000C2F4: D86C4C80 7E000015
	ds_read_b32 v127, v21 offset:19648                         // 00000000C2FC: D86C4CC0 7F000015
	ds_read_b32 v130, v21 offset:21760                         // 00000000C304: D86C5500 82000015
	ds_read_b32 v131, v21 offset:21824                         // 00000000C30C: D86C5540 83000015
	ds_read_b32 v134, v21 offset:23936                         // 00000000C314: D86C5D80 86000015
	ds_read_b32 v135, v21 offset:24000                         // 00000000C31C: D86C5DC0 87000015
	ds_read_b32 v138, v21 offset:26112                         // 00000000C324: D86C6600 8A000015
	ds_read_b32 v139, v21 offset:26176                         // 00000000C32C: D86C6640 8B000015
	ds_read_b32 v142, v21 offset:28288                         // 00000000C334: D86C6E80 8E000015
	ds_read_b32 v143, v21 offset:28352                         // 00000000C33C: D86C6EC0 8F000015
	ds_read_b32 v146, v21 offset:30464                         // 00000000C344: D86C7700 92000015
	ds_read_b32 v147, v21 offset:30528                         // 00000000C34C: D86C7740 93000015
	ds_read_b32 v150, v21 offset:32640                         // 00000000C354: D86C7F80 96000015
	ds_read_b32 v151, v21 offset:32704                         // 00000000C35C: D86C7FC0 97000015
	ds_read_b32 v154, v21 offset:34816                         // 00000000C364: D86C8800 9A000015
	ds_read_b32 v155, v21 offset:34880                         // 00000000C36C: D86C8840 9B000015
	ds_read_b32 v158, v21 offset:36992                         // 00000000C374: D86C9080 9E000015
	ds_read_b32 v159, v21 offset:37056                         // 00000000C37C: D86C90C0 9F000015
	s_waitcnt lgkmcnt(0)                                       // 00000000C384: BF8CC07F
	v_mov_b32_e32 v7, 0                                        // 00000000C388: 7E0E0280
	s_mov_b64 exec, s[36:37]                                   // 00000000C38C: BEFE0124
	v_mov_b32_e32 v6, v66                                      // 00000000C390: 7E0C0342
	s_mov_b64 s[60:61], 0                                      // 00000000C394: BEBC0180
	v_readlane_b32 s82, v3, 0                                  // 00000000C398: D2890052 00010103
	s_and_b32 s82, s82, 0xffffff                               // 00000000C3A0: 8652FF52 00FFFFFF
	s_cmp_lt_u32 s82, s66                                      // 00000000C3A8: BF0A4252
	s_cselect_b32 s20, s36, s60                                // 00000000C3AC: 85143C24
	v_readlane_b32 s82, v3, 1                                  // 00000000C3B0: D2890052 00010303
	s_and_b32 s82, s82, 0xffffff                               // 00000000C3B8: 8652FF52 00FFFFFF
	s_cmp_lt_u32 s82, s66                                      // 00000000C3C0: BF0A4252
	s_cselect_b32 s21, s36, s60                                // 00000000C3C4: 85153C24
	s_mov_b64 exec, s[20:21]                                   // 00000000C3C8: BEFE0114
	global_atomic_add_f32 v6, v90, s[8:9] offset:8             // 00000000C3CC: DD348008 00085A06
	global_atomic_add_f32 v6, v94, s[8:9] offset:264           // 00000000C3D4: DD348108 00085E06
	s_mov_b64 exec, s[36:37]                                   // 00000000C3DC: BEFE0124
	v_mov_b32_e32 v6, v67                                      // 00000000C3E0: 7E0C0343
	s_mov_b64 s[60:61], 0                                      // 00000000C3E4: BEBC0180
	v_readlane_b32 s82, v3, 2                                  // 00000000C3E8: D2890052 00010503
	s_and_b32 s82, s82, 0xffffff                               // 00000000C3F0: 8652FF52 00FFFFFF
	s_cmp_lt_u32 s82, s66                                      // 00000000C3F8: BF0A4252
	s_cselect_b32 s20, s36, s60                                // 00000000C3FC: 85143C24
	v_readlane_b32 s82, v3, 3                                  // 00000000C400: D2890052 00010703
	s_and_b32 s82, s82, 0xffffff                               // 00000000C408: 8652FF52 00FFFFFF
	s_cmp_lt_u32 s82, s66                                      // 00000000C410: BF0A4252
	s_cselect_b32 s21, s36, s60                                // 00000000C414: 85153C24
	s_mov_b64 exec, s[20:21]                                   // 00000000C418: BEFE0114
	global_atomic_add_f32 v6, v91, s[8:9] offset:8             // 00000000C41C: DD348008 00085B06
	global_atomic_add_f32 v6, v95, s[8:9] offset:264           // 00000000C424: DD348108 00085F06
	s_mov_b64 exec, s[36:37]                                   // 00000000C42C: BEFE0124
	v_mov_b32_e32 v6, v68                                      // 00000000C430: 7E0C0344
	s_mov_b64 s[60:61], 0                                      // 00000000C434: BEBC0180
	v_readlane_b32 s82, v3, 4                                  // 00000000C438: D2890052 00010903
	s_and_b32 s82, s82, 0xffffff                               // 00000000C440: 8652FF52 00FFFFFF
	s_cmp_lt_u32 s82, s66                                      // 00000000C448: BF0A4252
	s_cselect_b32 s20, s36, s60                                // 00000000C44C: 85143C24
	v_readlane_b32 s82, v3, 5                                  // 00000000C450: D2890052 00010B03
	s_and_b32 s82, s82, 0xffffff                               // 00000000C458: 8652FF52 00FFFFFF
	s_cmp_lt_u32 s82, s66                                      // 00000000C460: BF0A4252
	s_cselect_b32 s21, s36, s60                                // 00000000C464: 85153C24
	s_mov_b64 exec, s[20:21]                                   // 00000000C468: BEFE0114
	global_atomic_add_f32 v6, v98, s[8:9] offset:8             // 00000000C46C: DD348008 00086206
	global_atomic_add_f32 v6, v102, s[8:9] offset:264          // 00000000C474: DD348108 00086606
	s_mov_b64 exec, s[36:37]                                   // 00000000C47C: BEFE0124
	v_mov_b32_e32 v6, v69                                      // 00000000C480: 7E0C0345
	s_mov_b64 s[60:61], 0                                      // 00000000C484: BEBC0180
	v_readlane_b32 s82, v3, 6                                  // 00000000C488: D2890052 00010D03
	s_and_b32 s82, s82, 0xffffff                               // 00000000C490: 8652FF52 00FFFFFF
	s_cmp_lt_u32 s82, s66                                      // 00000000C498: BF0A4252
	s_cselect_b32 s20, s36, s60                                // 00000000C49C: 85143C24
	v_readlane_b32 s82, v3, 7                                  // 00000000C4A0: D2890052 00010F03
	s_and_b32 s82, s82, 0xffffff                               // 00000000C4A8: 8652FF52 00FFFFFF
	s_cmp_lt_u32 s82, s66                                      // 00000000C4B0: BF0A4252
	s_cselect_b32 s21, s36, s60                                // 00000000C4B4: 85153C24
	s_mov_b64 exec, s[20:21]                                   // 00000000C4B8: BEFE0114
	global_atomic_add_f32 v6, v99, s[8:9] offset:8             // 00000000C4BC: DD348008 00086306
	global_atomic_add_f32 v6, v103, s[8:9] offset:264          // 00000000C4C4: DD348108 00086706
	s_mov_b64 exec, s[36:37]                                   // 00000000C4CC: BEFE0124
	v_mov_b32_e32 v6, v70                                      // 00000000C4D0: 7E0C0346
	s_mov_b64 s[60:61], 0                                      // 00000000C4D4: BEBC0180
	v_readlane_b32 s82, v3, 8                                  // 00000000C4D8: D2890052 00011103
	s_and_b32 s82, s82, 0xffffff                               // 00000000C4E0: 8652FF52 00FFFFFF
	s_cmp_lt_u32 s82, s66                                      // 00000000C4E8: BF0A4252
	s_cselect_b32 s20, s36, s60                                // 00000000C4EC: 85143C24
	v_readlane_b32 s82, v3, 9                                  // 00000000C4F0: D2890052 00011303
	s_and_b32 s82, s82, 0xffffff                               // 00000000C4F8: 8652FF52 00FFFFFF
	s_cmp_lt_u32 s82, s66                                      // 00000000C500: BF0A4252
	s_cselect_b32 s21, s36, s60                                // 00000000C504: 85153C24
	s_mov_b64 exec, s[20:21]                                   // 00000000C508: BEFE0114
	global_atomic_add_f32 v6, v106, s[8:9] offset:8            // 00000000C50C: DD348008 00086A06
	global_atomic_add_f32 v6, v110, s[8:9] offset:264          // 00000000C514: DD348108 00086E06
	s_mov_b64 exec, s[36:37]                                   // 00000000C51C: BEFE0124
	v_mov_b32_e32 v6, v71                                      // 00000000C520: 7E0C0347
	s_mov_b64 s[60:61], 0                                      // 00000000C524: BEBC0180
	v_readlane_b32 s82, v3, 10                                 // 00000000C528: D2890052 00011503
	s_and_b32 s82, s82, 0xffffff                               // 00000000C530: 8652FF52 00FFFFFF
	s_cmp_lt_u32 s82, s66                                      // 00000000C538: BF0A4252
	s_cselect_b32 s20, s36, s60                                // 00000000C53C: 85143C24
	v_readlane_b32 s82, v3, 11                                 // 00000000C540: D2890052 00011703
	s_and_b32 s82, s82, 0xffffff                               // 00000000C548: 8652FF52 00FFFFFF
	s_cmp_lt_u32 s82, s66                                      // 00000000C550: BF0A4252
	s_cselect_b32 s21, s36, s60                                // 00000000C554: 85153C24
	s_mov_b64 exec, s[20:21]                                   // 00000000C558: BEFE0114
	global_atomic_add_f32 v6, v107, s[8:9] offset:8            // 00000000C55C: DD348008 00086B06
	global_atomic_add_f32 v6, v111, s[8:9] offset:264          // 00000000C564: DD348108 00086F06
	s_mov_b64 exec, s[36:37]                                   // 00000000C56C: BEFE0124
	v_mov_b32_e32 v6, v72                                      // 00000000C570: 7E0C0348
	s_mov_b64 s[60:61], 0                                      // 00000000C574: BEBC0180
	v_readlane_b32 s82, v3, 12                                 // 00000000C578: D2890052 00011903
	s_and_b32 s82, s82, 0xffffff                               // 00000000C580: 8652FF52 00FFFFFF
	s_cmp_lt_u32 s82, s66                                      // 00000000C588: BF0A4252
	s_cselect_b32 s20, s36, s60                                // 00000000C58C: 85143C24
	v_readlane_b32 s82, v3, 13                                 // 00000000C590: D2890052 00011B03
	s_and_b32 s82, s82, 0xffffff                               // 00000000C598: 8652FF52 00FFFFFF
	s_cmp_lt_u32 s82, s66                                      // 00000000C5A0: BF0A4252
	s_cselect_b32 s21, s36, s60                                // 00000000C5A4: 85153C24
	s_mov_b64 exec, s[20:21]                                   // 00000000C5A8: BEFE0114
	global_atomic_add_f32 v6, v114, s[8:9] offset:8            // 00000000C5AC: DD348008 00087206
	global_atomic_add_f32 v6, v118, s[8:9] offset:264          // 00000000C5B4: DD348108 00087606
	s_mov_b64 exec, s[36:37]                                   // 00000000C5BC: BEFE0124
	v_mov_b32_e32 v6, v73                                      // 00000000C5C0: 7E0C0349
	s_mov_b64 s[60:61], 0                                      // 00000000C5C4: BEBC0180
	v_readlane_b32 s82, v3, 14                                 // 00000000C5C8: D2890052 00011D03
	s_and_b32 s82, s82, 0xffffff                               // 00000000C5D0: 8652FF52 00FFFFFF
	s_cmp_lt_u32 s82, s66                                      // 00000000C5D8: BF0A4252
	s_cselect_b32 s20, s36, s60                                // 00000000C5DC: 85143C24
	v_readlane_b32 s82, v3, 15                                 // 00000000C5E0: D2890052 00011F03
	s_and_b32 s82, s82, 0xffffff                               // 00000000C5E8: 8652FF52 00FFFFFF
	s_cmp_lt_u32 s82, s66                                      // 00000000C5F0: BF0A4252
	s_cselect_b32 s21, s36, s60                                // 00000000C5F4: 85153C24
	s_mov_b64 exec, s[20:21]                                   // 00000000C5F8: BEFE0114
	global_atomic_add_f32 v6, v115, s[8:9] offset:8            // 00000000C5FC: DD348008 00087306
	global_atomic_add_f32 v6, v119, s[8:9] offset:264          // 00000000C604: DD348108 00087706
	s_mov_b64 exec, s[36:37]                                   // 00000000C60C: BEFE0124
	v_mov_b32_e32 v6, v74                                      // 00000000C610: 7E0C034A
	s_mov_b64 s[60:61], 0                                      // 00000000C614: BEBC0180
	v_readlane_b32 s82, v3, 16                                 // 00000000C618: D2890052 00012103
	s_and_b32 s82, s82, 0xffffff                               // 00000000C620: 8652FF52 00FFFFFF
	s_cmp_lt_u32 s82, s66                                      // 00000000C628: BF0A4252
	s_cselect_b32 s20, s36, s60                                // 00000000C62C: 85143C24
	v_readlane_b32 s82, v3, 17                                 // 00000000C630: D2890052 00012303
	s_and_b32 s82, s82, 0xffffff                               // 00000000C638: 8652FF52 00FFFFFF
	s_cmp_lt_u32 s82, s66                                      // 00000000C640: BF0A4252
	s_cselect_b32 s21, s36, s60                                // 00000000C644: 85153C24
	s_mov_b64 exec, s[20:21]                                   // 00000000C648: BEFE0114
	global_atomic_add_f32 v6, v122, s[8:9] offset:8            // 00000000C64C: DD348008 00087A06
	global_atomic_add_f32 v6, v126, s[8:9] offset:264          // 00000000C654: DD348108 00087E06
	s_mov_b64 exec, s[36:37]                                   // 00000000C65C: BEFE0124
	v_mov_b32_e32 v6, v75                                      // 00000000C660: 7E0C034B
	s_mov_b64 s[60:61], 0                                      // 00000000C664: BEBC0180
	v_readlane_b32 s82, v3, 18                                 // 00000000C668: D2890052 00012503
	s_and_b32 s82, s82, 0xffffff                               // 00000000C670: 8652FF52 00FFFFFF
	s_cmp_lt_u32 s82, s66                                      // 00000000C678: BF0A4252
	s_cselect_b32 s20, s36, s60                                // 00000000C67C: 85143C24
	v_readlane_b32 s82, v3, 19                                 // 00000000C680: D2890052 00012703
	s_and_b32 s82, s82, 0xffffff                               // 00000000C688: 8652FF52 00FFFFFF
	s_cmp_lt_u32 s82, s66                                      // 00000000C690: BF0A4252
	s_cselect_b32 s21, s36, s60                                // 00000000C694: 85153C24
	s_mov_b64 exec, s[20:21]                                   // 00000000C698: BEFE0114
	global_atomic_add_f32 v6, v123, s[8:9] offset:8            // 00000000C69C: DD348008 00087B06
	global_atomic_add_f32 v6, v127, s[8:9] offset:264          // 00000000C6A4: DD348108 00087F06
	s_mov_b64 exec, s[36:37]                                   // 00000000C6AC: BEFE0124
	v_mov_b32_e32 v6, v76                                      // 00000000C6B0: 7E0C034C
	s_mov_b64 s[60:61], 0                                      // 00000000C6B4: BEBC0180
	v_readlane_b32 s82, v3, 20                                 // 00000000C6B8: D2890052 00012903
	s_and_b32 s82, s82, 0xffffff                               // 00000000C6C0: 8652FF52 00FFFFFF
	s_cmp_lt_u32 s82, s66                                      // 00000000C6C8: BF0A4252
	s_cselect_b32 s20, s36, s60                                // 00000000C6CC: 85143C24
	v_readlane_b32 s82, v3, 21                                 // 00000000C6D0: D2890052 00012B03
	s_and_b32 s82, s82, 0xffffff                               // 00000000C6D8: 8652FF52 00FFFFFF
	s_cmp_lt_u32 s82, s66                                      // 00000000C6E0: BF0A4252
	s_cselect_b32 s21, s36, s60                                // 00000000C6E4: 85153C24
	s_mov_b64 exec, s[20:21]                                   // 00000000C6E8: BEFE0114
	global_atomic_add_f32 v6, v130, s[8:9] offset:8            // 00000000C6EC: DD348008 00088206
	global_atomic_add_f32 v6, v134, s[8:9] offset:264          // 00000000C6F4: DD348108 00088606
	s_mov_b64 exec, s[36:37]                                   // 00000000C6FC: BEFE0124
	v_mov_b32_e32 v6, v77                                      // 00000000C700: 7E0C034D
	s_mov_b64 s[60:61], 0                                      // 00000000C704: BEBC0180
	v_readlane_b32 s82, v3, 22                                 // 00000000C708: D2890052 00012D03
	s_and_b32 s82, s82, 0xffffff                               // 00000000C710: 8652FF52 00FFFFFF
	s_cmp_lt_u32 s82, s66                                      // 00000000C718: BF0A4252
	s_cselect_b32 s20, s36, s60                                // 00000000C71C: 85143C24
	v_readlane_b32 s82, v3, 23                                 // 00000000C720: D2890052 00012F03
	s_and_b32 s82, s82, 0xffffff                               // 00000000C728: 8652FF52 00FFFFFF
	s_cmp_lt_u32 s82, s66                                      // 00000000C730: BF0A4252
	s_cselect_b32 s21, s36, s60                                // 00000000C734: 85153C24
	s_mov_b64 exec, s[20:21]                                   // 00000000C738: BEFE0114
	global_atomic_add_f32 v6, v131, s[8:9] offset:8            // 00000000C73C: DD348008 00088306
	global_atomic_add_f32 v6, v135, s[8:9] offset:264          // 00000000C744: DD348108 00088706
	s_mov_b64 exec, s[36:37]                                   // 00000000C74C: BEFE0124
	v_mov_b32_e32 v6, v78                                      // 00000000C750: 7E0C034E
	s_mov_b64 s[60:61], 0                                      // 00000000C754: BEBC0180
	v_readlane_b32 s82, v3, 24                                 // 00000000C758: D2890052 00013103
	s_and_b32 s82, s82, 0xffffff                               // 00000000C760: 8652FF52 00FFFFFF
	s_cmp_lt_u32 s82, s66                                      // 00000000C768: BF0A4252
	s_cselect_b32 s20, s36, s60                                // 00000000C76C: 85143C24
	v_readlane_b32 s82, v3, 25                                 // 00000000C770: D2890052 00013303
	s_and_b32 s82, s82, 0xffffff                               // 00000000C778: 8652FF52 00FFFFFF
	s_cmp_lt_u32 s82, s66                                      // 00000000C780: BF0A4252
	s_cselect_b32 s21, s36, s60                                // 00000000C784: 85153C24
	s_mov_b64 exec, s[20:21]                                   // 00000000C788: BEFE0114
	global_atomic_add_f32 v6, v138, s[8:9] offset:8            // 00000000C78C: DD348008 00088A06
	global_atomic_add_f32 v6, v142, s[8:9] offset:264          // 00000000C794: DD348108 00088E06
	s_mov_b64 exec, s[36:37]                                   // 00000000C79C: BEFE0124
	v_mov_b32_e32 v6, v79                                      // 00000000C7A0: 7E0C034F
	s_mov_b64 s[60:61], 0                                      // 00000000C7A4: BEBC0180
	v_readlane_b32 s82, v3, 26                                 // 00000000C7A8: D2890052 00013503
	s_and_b32 s82, s82, 0xffffff                               // 00000000C7B0: 8652FF52 00FFFFFF
	s_cmp_lt_u32 s82, s66                                      // 00000000C7B8: BF0A4252
	s_cselect_b32 s20, s36, s60                                // 00000000C7BC: 85143C24
	v_readlane_b32 s82, v3, 27                                 // 00000000C7C0: D2890052 00013703
	s_and_b32 s82, s82, 0xffffff                               // 00000000C7C8: 8652FF52 00FFFFFF
	s_cmp_lt_u32 s82, s66                                      // 00000000C7D0: BF0A4252
	s_cselect_b32 s21, s36, s60                                // 00000000C7D4: 85153C24
	s_mov_b64 exec, s[20:21]                                   // 00000000C7D8: BEFE0114
	global_atomic_add_f32 v6, v139, s[8:9] offset:8            // 00000000C7DC: DD348008 00088B06
	global_atomic_add_f32 v6, v143, s[8:9] offset:264          // 00000000C7E4: DD348108 00088F06
	s_mov_b64 exec, s[36:37]                                   // 00000000C7EC: BEFE0124
	v_mov_b32_e32 v6, v80                                      // 00000000C7F0: 7E0C0350
	s_mov_b64 s[60:61], 0                                      // 00000000C7F4: BEBC0180
	v_readlane_b32 s82, v3, 28                                 // 00000000C7F8: D2890052 00013903
	s_and_b32 s82, s82, 0xffffff                               // 00000000C800: 8652FF52 00FFFFFF
	s_cmp_lt_u32 s82, s66                                      // 00000000C808: BF0A4252
	s_cselect_b32 s20, s36, s60                                // 00000000C80C: 85143C24
	v_readlane_b32 s82, v3, 29                                 // 00000000C810: D2890052 00013B03
	s_and_b32 s82, s82, 0xffffff                               // 00000000C818: 8652FF52 00FFFFFF
	s_cmp_lt_u32 s82, s66                                      // 00000000C820: BF0A4252
	s_cselect_b32 s21, s36, s60                                // 00000000C824: 85153C24
	s_mov_b64 exec, s[20:21]                                   // 00000000C828: BEFE0114
	global_atomic_add_f32 v6, v146, s[8:9] offset:8            // 00000000C82C: DD348008 00089206
	global_atomic_add_f32 v6, v150, s[8:9] offset:264          // 00000000C834: DD348108 00089606
	s_mov_b64 exec, s[36:37]                                   // 00000000C83C: BEFE0124
	v_mov_b32_e32 v6, v81                                      // 00000000C840: 7E0C0351
	s_mov_b64 s[60:61], 0                                      // 00000000C844: BEBC0180
	v_readlane_b32 s82, v3, 30                                 // 00000000C848: D2890052 00013D03
	s_and_b32 s82, s82, 0xffffff                               // 00000000C850: 8652FF52 00FFFFFF
	s_cmp_lt_u32 s82, s66                                      // 00000000C858: BF0A4252
	s_cselect_b32 s20, s36, s60                                // 00000000C85C: 85143C24
	v_readlane_b32 s82, v3, 31                                 // 00000000C860: D2890052 00013F03
	s_and_b32 s82, s82, 0xffffff                               // 00000000C868: 8652FF52 00FFFFFF
	s_cmp_lt_u32 s82, s66                                      // 00000000C870: BF0A4252
	s_cselect_b32 s21, s36, s60                                // 00000000C874: 85153C24
	s_mov_b64 exec, s[20:21]                                   // 00000000C878: BEFE0114
	global_atomic_add_f32 v6, v147, s[8:9] offset:8            // 00000000C87C: DD348008 00089306
	global_atomic_add_f32 v6, v151, s[8:9] offset:264          // 00000000C884: DD348108 00089706
	s_mov_b64 exec, s[36:37]                                   // 00000000C88C: BEFE0124
	v_mov_b32_e32 v6, v82                                      // 00000000C890: 7E0C0352
	s_mov_b64 s[60:61], 0                                      // 00000000C894: BEBC0180
	v_readlane_b32 s82, v3, 32                                 // 00000000C898: D2890052 00014103
	s_and_b32 s82, s82, 0xffffff                               // 00000000C8A0: 8652FF52 00FFFFFF
	s_cmp_lt_u32 s82, s66                                      // 00000000C8A8: BF0A4252
	s_cselect_b32 s20, s36, s60                                // 00000000C8AC: 85143C24
	v_readlane_b32 s82, v3, 33                                 // 00000000C8B0: D2890052 00014303
	s_and_b32 s82, s82, 0xffffff                               // 00000000C8B8: 8652FF52 00FFFFFF
	s_cmp_lt_u32 s82, s66                                      // 00000000C8C0: BF0A4252
	s_cselect_b32 s21, s36, s60                                // 00000000C8C4: 85153C24
	s_mov_b64 exec, s[20:21]                                   // 00000000C8C8: BEFE0114
	global_atomic_add_f32 v6, v154, s[8:9] offset:8            // 00000000C8CC: DD348008 00089A06
	global_atomic_add_f32 v6, v158, s[8:9] offset:264          // 00000000C8D4: DD348108 00089E06
	s_mov_b64 exec, s[36:37]                                   // 00000000C8DC: BEFE0124
	v_mov_b32_e32 v6, v83                                      // 00000000C8E0: 7E0C0353
	s_mov_b64 s[60:61], 0                                      // 00000000C8E4: BEBC0180
	v_readlane_b32 s82, v3, 34                                 // 00000000C8E8: D2890052 00014503
	s_and_b32 s82, s82, 0xffffff                               // 00000000C8F0: 8652FF52 00FFFFFF
	s_cmp_lt_u32 s82, s66                                      // 00000000C8F8: BF0A4252
	s_cselect_b32 s20, s36, s60                                // 00000000C8FC: 85143C24
	v_readlane_b32 s82, v3, 35                                 // 00000000C900: D2890052 00014703
	s_and_b32 s82, s82, 0xffffff                               // 00000000C908: 8652FF52 00FFFFFF
	s_cmp_lt_u32 s82, s66                                      // 00000000C910: BF0A4252
	s_cselect_b32 s21, s36, s60                                // 00000000C914: 85153C24
	s_mov_b64 exec, s[20:21]                                   // 00000000C918: BEFE0114
	global_atomic_add_f32 v6, v155, s[8:9] offset:8            // 00000000C91C: DD348008 00089B06
	global_atomic_add_f32 v6, v159, s[8:9] offset:264          // 00000000C924: DD348108 00089F06
	s_mov_b64 exec, s[36:37]                                   // 00000000C92C: BEFE0124
	ds_write_b64 v20, v[160:161]                               // 00000000C930: D89A0000 0000A014
	ds_write_b64 v20, v[164:165] offset:4352                   // 00000000C938: D89A1100 0000A414
	ds_write_b64 v20, v[168:169] offset:8704                   // 00000000C940: D89A2200 0000A814
	ds_write_b64 v20, v[172:173] offset:13056                  // 00000000C948: D89A3300 0000AC14
	ds_write_b64 v20, v[176:177] offset:17408                  // 00000000C950: D89A4400 0000B014
	ds_write_b64 v20, v[180:181] offset:21760                  // 00000000C958: D89A5500 0000B414
	ds_write_b64 v20, v[184:185] offset:26112                  // 00000000C960: D89A6600 0000B814
	ds_write_b64 v20, v[188:189] offset:30464                  // 00000000C968: D89A7700 0000BC14
	ds_write_b64 v20, v[192:193] offset:34816                  // 00000000C970: D89A8800 0000C014
	ds_write_b64 v20, v[196:197] offset:2176                   // 00000000C978: D89A0880 0000C414
	ds_write_b64 v20, v[200:201] offset:6528                   // 00000000C980: D89A1980 0000C814
	ds_write_b64 v20, v[204:205] offset:10880                  // 00000000C988: D89A2A80 0000CC14
	ds_write_b64 v20, v[208:209] offset:15232                  // 00000000C990: D89A3B80 0000D014
	ds_write_b64 v20, v[212:213] offset:19584                  // 00000000C998: D89A4C80 0000D414
	ds_write_b64 v20, v[216:217] offset:23936                  // 00000000C9A0: D89A5D80 0000D814
	ds_write_b64 v20, v[220:221] offset:28288                  // 00000000C9A8: D89A6E80 0000DC14
	ds_write_b64 v20, v[224:225] offset:32640                  // 00000000C9B0: D89A7F80 0000E014
	ds_write_b64 v20, v[228:229] offset:36992                  // 00000000C9B8: D89A9080 0000E414
	s_waitcnt lgkmcnt(0)                                       // 00000000C9C0: BF8CC07F
	s_barrier                                                  // 00000000C9C4: BF8A0000
	ds_read_b32 v160, v21                                      // 00000000C9C8: D86C0000 A0000015
	ds_read_b32 v161, v21 offset:64                            // 00000000C9D0: D86C0040 A1000015
	ds_read_b32 v164, v21 offset:2176                          // 00000000C9D8: D86C0880 A4000015
	ds_read_b32 v165, v21 offset:2240                          // 00000000C9E0: D86C08C0 A5000015
	ds_read_b32 v168, v21 offset:4352                          // 00000000C9E8: D86C1100 A8000015
	ds_read_b32 v169, v21 offset:4416                          // 00000000C9F0: D86C1140 A9000015
	ds_read_b32 v172, v21 offset:6528                          // 00000000C9F8: D86C1980 AC000015
	ds_read_b32 v173, v21 offset:6592                          // 00000000CA00: D86C19C0 AD000015
	ds_read_b32 v176, v21 offset:8704                          // 00000000CA08: D86C2200 B0000015
	ds_read_b32 v177, v21 offset:8768                          // 00000000CA10: D86C2240 B1000015
	ds_read_b32 v180, v21 offset:10880                         // 00000000CA18: D86C2A80 B4000015
	ds_read_b32 v181, v21 offset:10944                         // 00000000CA20: D86C2AC0 B5000015
	ds_read_b32 v184, v21 offset:13056                         // 00000000CA28: D86C3300 B8000015
	ds_read_b32 v185, v21 offset:13120                         // 00000000CA30: D86C3340 B9000015
	ds_read_b32 v188, v21 offset:15232                         // 00000000CA38: D86C3B80 BC000015
	ds_read_b32 v189, v21 offset:15296                         // 00000000CA40: D86C3BC0 BD000015
	ds_read_b32 v192, v21 offset:17408                         // 00000000CA48: D86C4400 C0000015
	ds_read_b32 v193, v21 offset:17472                         // 00000000CA50: D86C4440 C1000015
	ds_read_b32 v196, v21 offset:19584                         // 00000000CA58: D86C4C80 C4000015
	ds_read_b32 v197, v21 offset:19648                         // 00000000CA60: D86C4CC0 C5000015
	ds_read_b32 v200, v21 offset:21760                         // 00000000CA68: D86C5500 C8000015
	ds_read_b32 v201, v21 offset:21824                         // 00000000CA70: D86C5540 C9000015
	ds_read_b32 v204, v21 offset:23936                         // 00000000CA78: D86C5D80 CC000015
	ds_read_b32 v205, v21 offset:24000                         // 00000000CA80: D86C5DC0 CD000015
	ds_read_b32 v208, v21 offset:26112                         // 00000000CA88: D86C6600 D0000015
	ds_read_b32 v209, v21 offset:26176                         // 00000000CA90: D86C6640 D1000015
	ds_read_b32 v212, v21 offset:28288                         // 00000000CA98: D86C6E80 D4000015
	ds_read_b32 v213, v21 offset:28352                         // 00000000CAA0: D86C6EC0 D5000015
	ds_read_b32 v216, v21 offset:30464                         // 00000000CAA8: D86C7700 D8000015
	ds_read_b32 v217, v21 offset:30528                         // 00000000CAB0: D86C7740 D9000015
	ds_read_b32 v220, v21 offset:32640                         // 00000000CAB8: D86C7F80 DC000015
	ds_read_b32 v221, v21 offset:32704                         // 00000000CAC0: D86C7FC0 DD000015
	ds_read_b32 v224, v21 offset:34816                         // 00000000CAC8: D86C8800 E0000015
	ds_read_b32 v225, v21 offset:34880                         // 00000000CAD0: D86C8840 E1000015
	ds_read_b32 v228, v21 offset:36992                         // 00000000CAD8: D86C9080 E4000015
	ds_read_b32 v229, v21 offset:37056                         // 00000000CAE0: D86C90C0 E5000015
	s_mul_i32 s60, s65, 4                                      // 00000000CAE8: 923C8441
	s_add_u32 s8, s60, s8                                      // 00000000CAEC: 8008083C
	s_addc_u32 s9, 0, s9                                       // 00000000CAF0: 82090980
	s_waitcnt lgkmcnt(0)                                       // 00000000CAF4: BF8CC07F
	v_mov_b32_e32 v7, 0                                        // 00000000CAF8: 7E0E0280
	s_mov_b64 exec, s[36:37]                                   // 00000000CAFC: BEFE0124
	v_mov_b32_e32 v6, v66                                      // 00000000CB00: 7E0C0342
	s_mov_b64 s[60:61], 0                                      // 00000000CB04: BEBC0180
	v_readlane_b32 s82, v3, 0                                  // 00000000CB08: D2890052 00010103
	s_and_b32 s82, s82, 0xffffff                               // 00000000CB10: 8652FF52 00FFFFFF
	s_cmp_lt_u32 s82, s66                                      // 00000000CB18: BF0A4252
	s_cselect_b32 s20, s36, s60                                // 00000000CB1C: 85143C24
	v_readlane_b32 s82, v3, 1                                  // 00000000CB20: D2890052 00010303
	s_and_b32 s82, s82, 0xffffff                               // 00000000CB28: 8652FF52 00FFFFFF
	s_cmp_lt_u32 s82, s66                                      // 00000000CB30: BF0A4252
	s_cselect_b32 s21, s36, s60                                // 00000000CB34: 85153C24
	s_mov_b64 exec, s[20:21]                                   // 00000000CB38: BEFE0114
	global_atomic_add_f32 v6, v160, s[8:9]                     // 00000000CB3C: DD348000 0008A006
	global_atomic_add_f32 v6, v164, s[8:9] offset:256          // 00000000CB44: DD348100 0008A406
	s_mov_b64 exec, s[36:37]                                   // 00000000CB4C: BEFE0124
	v_mov_b32_e32 v6, v67                                      // 00000000CB50: 7E0C0343
	s_mov_b64 s[60:61], 0                                      // 00000000CB54: BEBC0180
	v_readlane_b32 s82, v3, 2                                  // 00000000CB58: D2890052 00010503
	s_and_b32 s82, s82, 0xffffff                               // 00000000CB60: 8652FF52 00FFFFFF
	s_cmp_lt_u32 s82, s66                                      // 00000000CB68: BF0A4252
	s_cselect_b32 s20, s36, s60                                // 00000000CB6C: 85143C24
	v_readlane_b32 s82, v3, 3                                  // 00000000CB70: D2890052 00010703
	s_and_b32 s82, s82, 0xffffff                               // 00000000CB78: 8652FF52 00FFFFFF
	s_cmp_lt_u32 s82, s66                                      // 00000000CB80: BF0A4252
	s_cselect_b32 s21, s36, s60                                // 00000000CB84: 85153C24
	s_mov_b64 exec, s[20:21]                                   // 00000000CB88: BEFE0114
	global_atomic_add_f32 v6, v161, s[8:9]                     // 00000000CB8C: DD348000 0008A106
	global_atomic_add_f32 v6, v165, s[8:9] offset:256          // 00000000CB94: DD348100 0008A506
	s_mov_b64 exec, s[36:37]                                   // 00000000CB9C: BEFE0124
	v_mov_b32_e32 v6, v68                                      // 00000000CBA0: 7E0C0344
	s_mov_b64 s[60:61], 0                                      // 00000000CBA4: BEBC0180
	v_readlane_b32 s82, v3, 4                                  // 00000000CBA8: D2890052 00010903
	s_and_b32 s82, s82, 0xffffff                               // 00000000CBB0: 8652FF52 00FFFFFF
	s_cmp_lt_u32 s82, s66                                      // 00000000CBB8: BF0A4252
	s_cselect_b32 s20, s36, s60                                // 00000000CBBC: 85143C24
	v_readlane_b32 s82, v3, 5                                  // 00000000CBC0: D2890052 00010B03
	s_and_b32 s82, s82, 0xffffff                               // 00000000CBC8: 8652FF52 00FFFFFF
	s_cmp_lt_u32 s82, s66                                      // 00000000CBD0: BF0A4252
	s_cselect_b32 s21, s36, s60                                // 00000000CBD4: 85153C24
	s_mov_b64 exec, s[20:21]                                   // 00000000CBD8: BEFE0114
	global_atomic_add_f32 v6, v168, s[8:9]                     // 00000000CBDC: DD348000 0008A806
	global_atomic_add_f32 v6, v172, s[8:9] offset:256          // 00000000CBE4: DD348100 0008AC06
	s_mov_b64 exec, s[36:37]                                   // 00000000CBEC: BEFE0124
	v_mov_b32_e32 v6, v69                                      // 00000000CBF0: 7E0C0345
	s_mov_b64 s[60:61], 0                                      // 00000000CBF4: BEBC0180
	v_readlane_b32 s82, v3, 6                                  // 00000000CBF8: D2890052 00010D03
	s_and_b32 s82, s82, 0xffffff                               // 00000000CC00: 8652FF52 00FFFFFF
	s_cmp_lt_u32 s82, s66                                      // 00000000CC08: BF0A4252
	s_cselect_b32 s20, s36, s60                                // 00000000CC0C: 85143C24
	v_readlane_b32 s82, v3, 7                                  // 00000000CC10: D2890052 00010F03
	s_and_b32 s82, s82, 0xffffff                               // 00000000CC18: 8652FF52 00FFFFFF
	s_cmp_lt_u32 s82, s66                                      // 00000000CC20: BF0A4252
	s_cselect_b32 s21, s36, s60                                // 00000000CC24: 85153C24
	s_mov_b64 exec, s[20:21]                                   // 00000000CC28: BEFE0114
	global_atomic_add_f32 v6, v169, s[8:9]                     // 00000000CC2C: DD348000 0008A906
	global_atomic_add_f32 v6, v173, s[8:9] offset:256          // 00000000CC34: DD348100 0008AD06
	s_mov_b64 exec, s[36:37]                                   // 00000000CC3C: BEFE0124
	v_mov_b32_e32 v6, v70                                      // 00000000CC40: 7E0C0346
	s_mov_b64 s[60:61], 0                                      // 00000000CC44: BEBC0180
	v_readlane_b32 s82, v3, 8                                  // 00000000CC48: D2890052 00011103
	s_and_b32 s82, s82, 0xffffff                               // 00000000CC50: 8652FF52 00FFFFFF
	s_cmp_lt_u32 s82, s66                                      // 00000000CC58: BF0A4252
	s_cselect_b32 s20, s36, s60                                // 00000000CC5C: 85143C24
	v_readlane_b32 s82, v3, 9                                  // 00000000CC60: D2890052 00011303
	s_and_b32 s82, s82, 0xffffff                               // 00000000CC68: 8652FF52 00FFFFFF
	s_cmp_lt_u32 s82, s66                                      // 00000000CC70: BF0A4252
	s_cselect_b32 s21, s36, s60                                // 00000000CC74: 85153C24
	s_mov_b64 exec, s[20:21]                                   // 00000000CC78: BEFE0114
	global_atomic_add_f32 v6, v176, s[8:9]                     // 00000000CC7C: DD348000 0008B006
	global_atomic_add_f32 v6, v180, s[8:9] offset:256          // 00000000CC84: DD348100 0008B406
	s_mov_b64 exec, s[36:37]                                   // 00000000CC8C: BEFE0124
	v_mov_b32_e32 v6, v71                                      // 00000000CC90: 7E0C0347
	s_mov_b64 s[60:61], 0                                      // 00000000CC94: BEBC0180
	v_readlane_b32 s82, v3, 10                                 // 00000000CC98: D2890052 00011503
	s_and_b32 s82, s82, 0xffffff                               // 00000000CCA0: 8652FF52 00FFFFFF
	s_cmp_lt_u32 s82, s66                                      // 00000000CCA8: BF0A4252
	s_cselect_b32 s20, s36, s60                                // 00000000CCAC: 85143C24
	v_readlane_b32 s82, v3, 11                                 // 00000000CCB0: D2890052 00011703
	s_and_b32 s82, s82, 0xffffff                               // 00000000CCB8: 8652FF52 00FFFFFF
	s_cmp_lt_u32 s82, s66                                      // 00000000CCC0: BF0A4252
	s_cselect_b32 s21, s36, s60                                // 00000000CCC4: 85153C24
	s_mov_b64 exec, s[20:21]                                   // 00000000CCC8: BEFE0114
	global_atomic_add_f32 v6, v177, s[8:9]                     // 00000000CCCC: DD348000 0008B106
	global_atomic_add_f32 v6, v181, s[8:9] offset:256          // 00000000CCD4: DD348100 0008B506
	s_mov_b64 exec, s[36:37]                                   // 00000000CCDC: BEFE0124
	v_mov_b32_e32 v6, v72                                      // 00000000CCE0: 7E0C0348
	s_mov_b64 s[60:61], 0                                      // 00000000CCE4: BEBC0180
	v_readlane_b32 s82, v3, 12                                 // 00000000CCE8: D2890052 00011903
	s_and_b32 s82, s82, 0xffffff                               // 00000000CCF0: 8652FF52 00FFFFFF
	s_cmp_lt_u32 s82, s66                                      // 00000000CCF8: BF0A4252
	s_cselect_b32 s20, s36, s60                                // 00000000CCFC: 85143C24
	v_readlane_b32 s82, v3, 13                                 // 00000000CD00: D2890052 00011B03
	s_and_b32 s82, s82, 0xffffff                               // 00000000CD08: 8652FF52 00FFFFFF
	s_cmp_lt_u32 s82, s66                                      // 00000000CD10: BF0A4252
	s_cselect_b32 s21, s36, s60                                // 00000000CD14: 85153C24
	s_mov_b64 exec, s[20:21]                                   // 00000000CD18: BEFE0114
	global_atomic_add_f32 v6, v184, s[8:9]                     // 00000000CD1C: DD348000 0008B806
	global_atomic_add_f32 v6, v188, s[8:9] offset:256          // 00000000CD24: DD348100 0008BC06
	s_mov_b64 exec, s[36:37]                                   // 00000000CD2C: BEFE0124
	v_mov_b32_e32 v6, v73                                      // 00000000CD30: 7E0C0349
	s_mov_b64 s[60:61], 0                                      // 00000000CD34: BEBC0180
	v_readlane_b32 s82, v3, 14                                 // 00000000CD38: D2890052 00011D03
	s_and_b32 s82, s82, 0xffffff                               // 00000000CD40: 8652FF52 00FFFFFF
	s_cmp_lt_u32 s82, s66                                      // 00000000CD48: BF0A4252
	s_cselect_b32 s20, s36, s60                                // 00000000CD4C: 85143C24
	v_readlane_b32 s82, v3, 15                                 // 00000000CD50: D2890052 00011F03
	s_and_b32 s82, s82, 0xffffff                               // 00000000CD58: 8652FF52 00FFFFFF
	s_cmp_lt_u32 s82, s66                                      // 00000000CD60: BF0A4252
	s_cselect_b32 s21, s36, s60                                // 00000000CD64: 85153C24
	s_mov_b64 exec, s[20:21]                                   // 00000000CD68: BEFE0114
	global_atomic_add_f32 v6, v185, s[8:9]                     // 00000000CD6C: DD348000 0008B906
	global_atomic_add_f32 v6, v189, s[8:9] offset:256          // 00000000CD74: DD348100 0008BD06
	s_mov_b64 exec, s[36:37]                                   // 00000000CD7C: BEFE0124
	v_mov_b32_e32 v6, v74                                      // 00000000CD80: 7E0C034A
	s_mov_b64 s[60:61], 0                                      // 00000000CD84: BEBC0180
	v_readlane_b32 s82, v3, 16                                 // 00000000CD88: D2890052 00012103
	s_and_b32 s82, s82, 0xffffff                               // 00000000CD90: 8652FF52 00FFFFFF
	s_cmp_lt_u32 s82, s66                                      // 00000000CD98: BF0A4252
	s_cselect_b32 s20, s36, s60                                // 00000000CD9C: 85143C24
	v_readlane_b32 s82, v3, 17                                 // 00000000CDA0: D2890052 00012303
	s_and_b32 s82, s82, 0xffffff                               // 00000000CDA8: 8652FF52 00FFFFFF
	s_cmp_lt_u32 s82, s66                                      // 00000000CDB0: BF0A4252
	s_cselect_b32 s21, s36, s60                                // 00000000CDB4: 85153C24
	s_mov_b64 exec, s[20:21]                                   // 00000000CDB8: BEFE0114
	global_atomic_add_f32 v6, v192, s[8:9]                     // 00000000CDBC: DD348000 0008C006
	global_atomic_add_f32 v6, v196, s[8:9] offset:256          // 00000000CDC4: DD348100 0008C406
	s_mov_b64 exec, s[36:37]                                   // 00000000CDCC: BEFE0124
	v_mov_b32_e32 v6, v75                                      // 00000000CDD0: 7E0C034B
	s_mov_b64 s[60:61], 0                                      // 00000000CDD4: BEBC0180
	v_readlane_b32 s82, v3, 18                                 // 00000000CDD8: D2890052 00012503
	s_and_b32 s82, s82, 0xffffff                               // 00000000CDE0: 8652FF52 00FFFFFF
	s_cmp_lt_u32 s82, s66                                      // 00000000CDE8: BF0A4252
	s_cselect_b32 s20, s36, s60                                // 00000000CDEC: 85143C24
	v_readlane_b32 s82, v3, 19                                 // 00000000CDF0: D2890052 00012703
	s_and_b32 s82, s82, 0xffffff                               // 00000000CDF8: 8652FF52 00FFFFFF
	s_cmp_lt_u32 s82, s66                                      // 00000000CE00: BF0A4252
	s_cselect_b32 s21, s36, s60                                // 00000000CE04: 85153C24
	s_mov_b64 exec, s[20:21]                                   // 00000000CE08: BEFE0114
	global_atomic_add_f32 v6, v193, s[8:9]                     // 00000000CE0C: DD348000 0008C106
	global_atomic_add_f32 v6, v197, s[8:9] offset:256          // 00000000CE14: DD348100 0008C506
	s_mov_b64 exec, s[36:37]                                   // 00000000CE1C: BEFE0124
	v_mov_b32_e32 v6, v76                                      // 00000000CE20: 7E0C034C
	s_mov_b64 s[60:61], 0                                      // 00000000CE24: BEBC0180
	v_readlane_b32 s82, v3, 20                                 // 00000000CE28: D2890052 00012903
	s_and_b32 s82, s82, 0xffffff                               // 00000000CE30: 8652FF52 00FFFFFF
	s_cmp_lt_u32 s82, s66                                      // 00000000CE38: BF0A4252
	s_cselect_b32 s20, s36, s60                                // 00000000CE3C: 85143C24
	v_readlane_b32 s82, v3, 21                                 // 00000000CE40: D2890052 00012B03
	s_and_b32 s82, s82, 0xffffff                               // 00000000CE48: 8652FF52 00FFFFFF
	s_cmp_lt_u32 s82, s66                                      // 00000000CE50: BF0A4252
	s_cselect_b32 s21, s36, s60                                // 00000000CE54: 85153C24
	s_mov_b64 exec, s[20:21]                                   // 00000000CE58: BEFE0114
	global_atomic_add_f32 v6, v200, s[8:9]                     // 00000000CE5C: DD348000 0008C806
	global_atomic_add_f32 v6, v204, s[8:9] offset:256          // 00000000CE64: DD348100 0008CC06
	s_mov_b64 exec, s[36:37]                                   // 00000000CE6C: BEFE0124
	v_mov_b32_e32 v6, v77                                      // 00000000CE70: 7E0C034D
	s_mov_b64 s[60:61], 0                                      // 00000000CE74: BEBC0180
	v_readlane_b32 s82, v3, 22                                 // 00000000CE78: D2890052 00012D03
	s_and_b32 s82, s82, 0xffffff                               // 00000000CE80: 8652FF52 00FFFFFF
	s_cmp_lt_u32 s82, s66                                      // 00000000CE88: BF0A4252
	s_cselect_b32 s20, s36, s60                                // 00000000CE8C: 85143C24
	v_readlane_b32 s82, v3, 23                                 // 00000000CE90: D2890052 00012F03
	s_and_b32 s82, s82, 0xffffff                               // 00000000CE98: 8652FF52 00FFFFFF
	s_cmp_lt_u32 s82, s66                                      // 00000000CEA0: BF0A4252
	s_cselect_b32 s21, s36, s60                                // 00000000CEA4: 85153C24
	s_mov_b64 exec, s[20:21]                                   // 00000000CEA8: BEFE0114
	global_atomic_add_f32 v6, v201, s[8:9]                     // 00000000CEAC: DD348000 0008C906
	global_atomic_add_f32 v6, v205, s[8:9] offset:256          // 00000000CEB4: DD348100 0008CD06
	s_mov_b64 exec, s[36:37]                                   // 00000000CEBC: BEFE0124
	v_mov_b32_e32 v6, v78                                      // 00000000CEC0: 7E0C034E
	s_mov_b64 s[60:61], 0                                      // 00000000CEC4: BEBC0180
	v_readlane_b32 s82, v3, 24                                 // 00000000CEC8: D2890052 00013103
	s_and_b32 s82, s82, 0xffffff                               // 00000000CED0: 8652FF52 00FFFFFF
	s_cmp_lt_u32 s82, s66                                      // 00000000CED8: BF0A4252
	s_cselect_b32 s20, s36, s60                                // 00000000CEDC: 85143C24
	v_readlane_b32 s82, v3, 25                                 // 00000000CEE0: D2890052 00013303
	s_and_b32 s82, s82, 0xffffff                               // 00000000CEE8: 8652FF52 00FFFFFF
	s_cmp_lt_u32 s82, s66                                      // 00000000CEF0: BF0A4252
	s_cselect_b32 s21, s36, s60                                // 00000000CEF4: 85153C24
	s_mov_b64 exec, s[20:21]                                   // 00000000CEF8: BEFE0114
	global_atomic_add_f32 v6, v208, s[8:9]                     // 00000000CEFC: DD348000 0008D006
	global_atomic_add_f32 v6, v212, s[8:9] offset:256          // 00000000CF04: DD348100 0008D406
	s_mov_b64 exec, s[36:37]                                   // 00000000CF0C: BEFE0124
	v_mov_b32_e32 v6, v79                                      // 00000000CF10: 7E0C034F
	s_mov_b64 s[60:61], 0                                      // 00000000CF14: BEBC0180
	v_readlane_b32 s82, v3, 26                                 // 00000000CF18: D2890052 00013503
	s_and_b32 s82, s82, 0xffffff                               // 00000000CF20: 8652FF52 00FFFFFF
	s_cmp_lt_u32 s82, s66                                      // 00000000CF28: BF0A4252
	s_cselect_b32 s20, s36, s60                                // 00000000CF2C: 85143C24
	v_readlane_b32 s82, v3, 27                                 // 00000000CF30: D2890052 00013703
	s_and_b32 s82, s82, 0xffffff                               // 00000000CF38: 8652FF52 00FFFFFF
	s_cmp_lt_u32 s82, s66                                      // 00000000CF40: BF0A4252
	s_cselect_b32 s21, s36, s60                                // 00000000CF44: 85153C24
	s_mov_b64 exec, s[20:21]                                   // 00000000CF48: BEFE0114
	global_atomic_add_f32 v6, v209, s[8:9]                     // 00000000CF4C: DD348000 0008D106
	global_atomic_add_f32 v6, v213, s[8:9] offset:256          // 00000000CF54: DD348100 0008D506
	s_mov_b64 exec, s[36:37]                                   // 00000000CF5C: BEFE0124
	v_mov_b32_e32 v6, v80                                      // 00000000CF60: 7E0C0350
	s_mov_b64 s[60:61], 0                                      // 00000000CF64: BEBC0180
	v_readlane_b32 s82, v3, 28                                 // 00000000CF68: D2890052 00013903
	s_and_b32 s82, s82, 0xffffff                               // 00000000CF70: 8652FF52 00FFFFFF
	s_cmp_lt_u32 s82, s66                                      // 00000000CF78: BF0A4252
	s_cselect_b32 s20, s36, s60                                // 00000000CF7C: 85143C24
	v_readlane_b32 s82, v3, 29                                 // 00000000CF80: D2890052 00013B03
	s_and_b32 s82, s82, 0xffffff                               // 00000000CF88: 8652FF52 00FFFFFF
	s_cmp_lt_u32 s82, s66                                      // 00000000CF90: BF0A4252
	s_cselect_b32 s21, s36, s60                                // 00000000CF94: 85153C24
	s_mov_b64 exec, s[20:21]                                   // 00000000CF98: BEFE0114
	global_atomic_add_f32 v6, v216, s[8:9]                     // 00000000CF9C: DD348000 0008D806
	global_atomic_add_f32 v6, v220, s[8:9] offset:256          // 00000000CFA4: DD348100 0008DC06
	s_mov_b64 exec, s[36:37]                                   // 00000000CFAC: BEFE0124
	v_mov_b32_e32 v6, v81                                      // 00000000CFB0: 7E0C0351
	s_mov_b64 s[60:61], 0                                      // 00000000CFB4: BEBC0180
	v_readlane_b32 s82, v3, 30                                 // 00000000CFB8: D2890052 00013D03
	s_and_b32 s82, s82, 0xffffff                               // 00000000CFC0: 8652FF52 00FFFFFF
	s_cmp_lt_u32 s82, s66                                      // 00000000CFC8: BF0A4252
	s_cselect_b32 s20, s36, s60                                // 00000000CFCC: 85143C24
	v_readlane_b32 s82, v3, 31                                 // 00000000CFD0: D2890052 00013F03
	s_and_b32 s82, s82, 0xffffff                               // 00000000CFD8: 8652FF52 00FFFFFF
	s_cmp_lt_u32 s82, s66                                      // 00000000CFE0: BF0A4252
	s_cselect_b32 s21, s36, s60                                // 00000000CFE4: 85153C24
	s_mov_b64 exec, s[20:21]                                   // 00000000CFE8: BEFE0114
	global_atomic_add_f32 v6, v217, s[8:9]                     // 00000000CFEC: DD348000 0008D906
	global_atomic_add_f32 v6, v221, s[8:9] offset:256          // 00000000CFF4: DD348100 0008DD06
	s_mov_b64 exec, s[36:37]                                   // 00000000CFFC: BEFE0124
	v_mov_b32_e32 v6, v82                                      // 00000000D000: 7E0C0352
	s_mov_b64 s[60:61], 0                                      // 00000000D004: BEBC0180
	v_readlane_b32 s82, v3, 32                                 // 00000000D008: D2890052 00014103
	s_and_b32 s82, s82, 0xffffff                               // 00000000D010: 8652FF52 00FFFFFF
	s_cmp_lt_u32 s82, s66                                      // 00000000D018: BF0A4252
	s_cselect_b32 s20, s36, s60                                // 00000000D01C: 85143C24
	v_readlane_b32 s82, v3, 33                                 // 00000000D020: D2890052 00014303
	s_and_b32 s82, s82, 0xffffff                               // 00000000D028: 8652FF52 00FFFFFF
	s_cmp_lt_u32 s82, s66                                      // 00000000D030: BF0A4252
	s_cselect_b32 s21, s36, s60                                // 00000000D034: 85153C24
	s_mov_b64 exec, s[20:21]                                   // 00000000D038: BEFE0114
	global_atomic_add_f32 v6, v224, s[8:9]                     // 00000000D03C: DD348000 0008E006
	global_atomic_add_f32 v6, v228, s[8:9] offset:256          // 00000000D044: DD348100 0008E406
	s_mov_b64 exec, s[36:37]                                   // 00000000D04C: BEFE0124
	v_mov_b32_e32 v6, v83                                      // 00000000D050: 7E0C0353
	s_mov_b64 s[60:61], 0                                      // 00000000D054: BEBC0180
	v_readlane_b32 s82, v3, 34                                 // 00000000D058: D2890052 00014503
	s_and_b32 s82, s82, 0xffffff                               // 00000000D060: 8652FF52 00FFFFFF
	s_cmp_lt_u32 s82, s66                                      // 00000000D068: BF0A4252
	s_cselect_b32 s20, s36, s60                                // 00000000D06C: 85143C24
	v_readlane_b32 s82, v3, 35                                 // 00000000D070: D2890052 00014703
	s_and_b32 s82, s82, 0xffffff                               // 00000000D078: 8652FF52 00FFFFFF
	s_cmp_lt_u32 s82, s66                                      // 00000000D080: BF0A4252
	s_cselect_b32 s21, s36, s60                                // 00000000D084: 85153C24
	s_mov_b64 exec, s[20:21]                                   // 00000000D088: BEFE0114
	global_atomic_add_f32 v6, v225, s[8:9]                     // 00000000D08C: DD348000 0008E106
	global_atomic_add_f32 v6, v229, s[8:9] offset:256          // 00000000D094: DD348100 0008E506
	s_mov_b64 exec, s[36:37]                                   // 00000000D09C: BEFE0124
	ds_write_b64 v20, v[162:163]                               // 00000000D0A0: D89A0000 0000A214
	ds_write_b64 v20, v[166:167] offset:4352                   // 00000000D0A8: D89A1100 0000A614
	ds_write_b64 v20, v[170:171] offset:8704                   // 00000000D0B0: D89A2200 0000AA14
	ds_write_b64 v20, v[174:175] offset:13056                  // 00000000D0B8: D89A3300 0000AE14
	ds_write_b64 v20, v[178:179] offset:17408                  // 00000000D0C0: D89A4400 0000B214
	ds_write_b64 v20, v[182:183] offset:21760                  // 00000000D0C8: D89A5500 0000B614
	ds_write_b64 v20, v[186:187] offset:26112                  // 00000000D0D0: D89A6600 0000BA14
	ds_write_b64 v20, v[190:191] offset:30464                  // 00000000D0D8: D89A7700 0000BE14
	ds_write_b64 v20, v[194:195] offset:34816                  // 00000000D0E0: D89A8800 0000C214
	ds_write_b64 v20, v[198:199] offset:2176                   // 00000000D0E8: D89A0880 0000C614
	ds_write_b64 v20, v[202:203] offset:6528                   // 00000000D0F0: D89A1980 0000CA14
	ds_write_b64 v20, v[206:207] offset:10880                  // 00000000D0F8: D89A2A80 0000CE14
	ds_write_b64 v20, v[210:211] offset:15232                  // 00000000D100: D89A3B80 0000D214
	ds_write_b64 v20, v[214:215] offset:19584                  // 00000000D108: D89A4C80 0000D614
	ds_write_b64 v20, v[218:219] offset:23936                  // 00000000D110: D89A5D80 0000DA14
	ds_write_b64 v20, v[222:223] offset:28288                  // 00000000D118: D89A6E80 0000DE14
	ds_write_b64 v20, v[226:227] offset:32640                  // 00000000D120: D89A7F80 0000E214
	ds_write_b64 v20, v[230:231] offset:36992                  // 00000000D128: D89A9080 0000E614
	s_waitcnt lgkmcnt(0)                                       // 00000000D130: BF8CC07F
	s_barrier                                                  // 00000000D134: BF8A0000
	ds_read_b32 v162, v21                                      // 00000000D138: D86C0000 A2000015
	ds_read_b32 v163, v21 offset:64                            // 00000000D140: D86C0040 A3000015
	ds_read_b32 v166, v21 offset:2176                          // 00000000D148: D86C0880 A6000015
	ds_read_b32 v167, v21 offset:2240                          // 00000000D150: D86C08C0 A7000015
	ds_read_b32 v170, v21 offset:4352                          // 00000000D158: D86C1100 AA000015
	ds_read_b32 v171, v21 offset:4416                          // 00000000D160: D86C1140 AB000015
	ds_read_b32 v174, v21 offset:6528                          // 00000000D168: D86C1980 AE000015
	ds_read_b32 v175, v21 offset:6592                          // 00000000D170: D86C19C0 AF000015
	ds_read_b32 v178, v21 offset:8704                          // 00000000D178: D86C2200 B2000015
	ds_read_b32 v179, v21 offset:8768                          // 00000000D180: D86C2240 B3000015
	ds_read_b32 v182, v21 offset:10880                         // 00000000D188: D86C2A80 B6000015
	ds_read_b32 v183, v21 offset:10944                         // 00000000D190: D86C2AC0 B7000015
	ds_read_b32 v186, v21 offset:13056                         // 00000000D198: D86C3300 BA000015
	ds_read_b32 v187, v21 offset:13120                         // 00000000D1A0: D86C3340 BB000015
	ds_read_b32 v190, v21 offset:15232                         // 00000000D1A8: D86C3B80 BE000015
	ds_read_b32 v191, v21 offset:15296                         // 00000000D1B0: D86C3BC0 BF000015
	ds_read_b32 v194, v21 offset:17408                         // 00000000D1B8: D86C4400 C2000015
	ds_read_b32 v195, v21 offset:17472                         // 00000000D1C0: D86C4440 C3000015
	ds_read_b32 v198, v21 offset:19584                         // 00000000D1C8: D86C4C80 C6000015
	ds_read_b32 v199, v21 offset:19648                         // 00000000D1D0: D86C4CC0 C7000015
	ds_read_b32 v202, v21 offset:21760                         // 00000000D1D8: D86C5500 CA000015
	ds_read_b32 v203, v21 offset:21824                         // 00000000D1E0: D86C5540 CB000015
	ds_read_b32 v206, v21 offset:23936                         // 00000000D1E8: D86C5D80 CE000015
	ds_read_b32 v207, v21 offset:24000                         // 00000000D1F0: D86C5DC0 CF000015
	ds_read_b32 v210, v21 offset:26112                         // 00000000D1F8: D86C6600 D2000015
	ds_read_b32 v211, v21 offset:26176                         // 00000000D200: D86C6640 D3000015
	ds_read_b32 v214, v21 offset:28288                         // 00000000D208: D86C6E80 D6000015
	ds_read_b32 v215, v21 offset:28352                         // 00000000D210: D86C6EC0 D7000015
	ds_read_b32 v218, v21 offset:30464                         // 00000000D218: D86C7700 DA000015
	ds_read_b32 v219, v21 offset:30528                         // 00000000D220: D86C7740 DB000015
	ds_read_b32 v222, v21 offset:32640                         // 00000000D228: D86C7F80 DE000015
	ds_read_b32 v223, v21 offset:32704                         // 00000000D230: D86C7FC0 DF000015
	ds_read_b32 v226, v21 offset:34816                         // 00000000D238: D86C8800 E2000015
	ds_read_b32 v227, v21 offset:34880                         // 00000000D240: D86C8840 E3000015
	ds_read_b32 v230, v21 offset:36992                         // 00000000D248: D86C9080 E6000015
	ds_read_b32 v231, v21 offset:37056                         // 00000000D250: D86C90C0 E7000015
	s_waitcnt lgkmcnt(0)                                       // 00000000D258: BF8CC07F
	v_mov_b32_e32 v7, 0                                        // 00000000D25C: 7E0E0280
	s_mov_b64 exec, s[36:37]                                   // 00000000D260: BEFE0124
	v_mov_b32_e32 v6, v66                                      // 00000000D264: 7E0C0342
	s_mov_b64 s[60:61], 0                                      // 00000000D268: BEBC0180
	v_readlane_b32 s82, v3, 0                                  // 00000000D26C: D2890052 00010103
	s_and_b32 s82, s82, 0xffffff                               // 00000000D274: 8652FF52 00FFFFFF
	s_cmp_lt_u32 s82, s66                                      // 00000000D27C: BF0A4252
	s_cselect_b32 s20, s36, s60                                // 00000000D280: 85143C24
	v_readlane_b32 s82, v3, 1                                  // 00000000D284: D2890052 00010303
	s_and_b32 s82, s82, 0xffffff                               // 00000000D28C: 8652FF52 00FFFFFF
	s_cmp_lt_u32 s82, s66                                      // 00000000D294: BF0A4252
	s_cselect_b32 s21, s36, s60                                // 00000000D298: 85153C24
	s_mov_b64 exec, s[20:21]                                   // 00000000D29C: BEFE0114
	global_atomic_add_f32 v6, v162, s[8:9] offset:8            // 00000000D2A0: DD348008 0008A206
	global_atomic_add_f32 v6, v166, s[8:9] offset:264          // 00000000D2A8: DD348108 0008A606
	s_mov_b64 exec, s[36:37]                                   // 00000000D2B0: BEFE0124
	v_mov_b32_e32 v6, v67                                      // 00000000D2B4: 7E0C0343
	s_mov_b64 s[60:61], 0                                      // 00000000D2B8: BEBC0180
	v_readlane_b32 s82, v3, 2                                  // 00000000D2BC: D2890052 00010503
	s_and_b32 s82, s82, 0xffffff                               // 00000000D2C4: 8652FF52 00FFFFFF
	s_cmp_lt_u32 s82, s66                                      // 00000000D2CC: BF0A4252
	s_cselect_b32 s20, s36, s60                                // 00000000D2D0: 85143C24
	v_readlane_b32 s82, v3, 3                                  // 00000000D2D4: D2890052 00010703
	s_and_b32 s82, s82, 0xffffff                               // 00000000D2DC: 8652FF52 00FFFFFF
	s_cmp_lt_u32 s82, s66                                      // 00000000D2E4: BF0A4252
	s_cselect_b32 s21, s36, s60                                // 00000000D2E8: 85153C24
	s_mov_b64 exec, s[20:21]                                   // 00000000D2EC: BEFE0114
	global_atomic_add_f32 v6, v163, s[8:9] offset:8            // 00000000D2F0: DD348008 0008A306
	global_atomic_add_f32 v6, v167, s[8:9] offset:264          // 00000000D2F8: DD348108 0008A706
	s_mov_b64 exec, s[36:37]                                   // 00000000D300: BEFE0124
	v_mov_b32_e32 v6, v68                                      // 00000000D304: 7E0C0344
	s_mov_b64 s[60:61], 0                                      // 00000000D308: BEBC0180
	v_readlane_b32 s82, v3, 4                                  // 00000000D30C: D2890052 00010903
	s_and_b32 s82, s82, 0xffffff                               // 00000000D314: 8652FF52 00FFFFFF
	s_cmp_lt_u32 s82, s66                                      // 00000000D31C: BF0A4252
	s_cselect_b32 s20, s36, s60                                // 00000000D320: 85143C24
	v_readlane_b32 s82, v3, 5                                  // 00000000D324: D2890052 00010B03
	s_and_b32 s82, s82, 0xffffff                               // 00000000D32C: 8652FF52 00FFFFFF
	s_cmp_lt_u32 s82, s66                                      // 00000000D334: BF0A4252
	s_cselect_b32 s21, s36, s60                                // 00000000D338: 85153C24
	s_mov_b64 exec, s[20:21]                                   // 00000000D33C: BEFE0114
	global_atomic_add_f32 v6, v170, s[8:9] offset:8            // 00000000D340: DD348008 0008AA06
	global_atomic_add_f32 v6, v174, s[8:9] offset:264          // 00000000D348: DD348108 0008AE06
	s_mov_b64 exec, s[36:37]                                   // 00000000D350: BEFE0124
	v_mov_b32_e32 v6, v69                                      // 00000000D354: 7E0C0345
	s_mov_b64 s[60:61], 0                                      // 00000000D358: BEBC0180
	v_readlane_b32 s82, v3, 6                                  // 00000000D35C: D2890052 00010D03
	s_and_b32 s82, s82, 0xffffff                               // 00000000D364: 8652FF52 00FFFFFF
	s_cmp_lt_u32 s82, s66                                      // 00000000D36C: BF0A4252
	s_cselect_b32 s20, s36, s60                                // 00000000D370: 85143C24
	v_readlane_b32 s82, v3, 7                                  // 00000000D374: D2890052 00010F03
	s_and_b32 s82, s82, 0xffffff                               // 00000000D37C: 8652FF52 00FFFFFF
	s_cmp_lt_u32 s82, s66                                      // 00000000D384: BF0A4252
	s_cselect_b32 s21, s36, s60                                // 00000000D388: 85153C24
	s_mov_b64 exec, s[20:21]                                   // 00000000D38C: BEFE0114
	global_atomic_add_f32 v6, v171, s[8:9] offset:8            // 00000000D390: DD348008 0008AB06
	global_atomic_add_f32 v6, v175, s[8:9] offset:264          // 00000000D398: DD348108 0008AF06
	s_mov_b64 exec, s[36:37]                                   // 00000000D3A0: BEFE0124
	v_mov_b32_e32 v6, v70                                      // 00000000D3A4: 7E0C0346
	s_mov_b64 s[60:61], 0                                      // 00000000D3A8: BEBC0180
	v_readlane_b32 s82, v3, 8                                  // 00000000D3AC: D2890052 00011103
	s_and_b32 s82, s82, 0xffffff                               // 00000000D3B4: 8652FF52 00FFFFFF
	s_cmp_lt_u32 s82, s66                                      // 00000000D3BC: BF0A4252
	s_cselect_b32 s20, s36, s60                                // 00000000D3C0: 85143C24
	v_readlane_b32 s82, v3, 9                                  // 00000000D3C4: D2890052 00011303
	s_and_b32 s82, s82, 0xffffff                               // 00000000D3CC: 8652FF52 00FFFFFF
	s_cmp_lt_u32 s82, s66                                      // 00000000D3D4: BF0A4252
	s_cselect_b32 s21, s36, s60                                // 00000000D3D8: 85153C24
	s_mov_b64 exec, s[20:21]                                   // 00000000D3DC: BEFE0114
	global_atomic_add_f32 v6, v178, s[8:9] offset:8            // 00000000D3E0: DD348008 0008B206
	global_atomic_add_f32 v6, v182, s[8:9] offset:264          // 00000000D3E8: DD348108 0008B606
	s_mov_b64 exec, s[36:37]                                   // 00000000D3F0: BEFE0124
	v_mov_b32_e32 v6, v71                                      // 00000000D3F4: 7E0C0347
	s_mov_b64 s[60:61], 0                                      // 00000000D3F8: BEBC0180
	v_readlane_b32 s82, v3, 10                                 // 00000000D3FC: D2890052 00011503
	s_and_b32 s82, s82, 0xffffff                               // 00000000D404: 8652FF52 00FFFFFF
	s_cmp_lt_u32 s82, s66                                      // 00000000D40C: BF0A4252
	s_cselect_b32 s20, s36, s60                                // 00000000D410: 85143C24
	v_readlane_b32 s82, v3, 11                                 // 00000000D414: D2890052 00011703
	s_and_b32 s82, s82, 0xffffff                               // 00000000D41C: 8652FF52 00FFFFFF
	s_cmp_lt_u32 s82, s66                                      // 00000000D424: BF0A4252
	s_cselect_b32 s21, s36, s60                                // 00000000D428: 85153C24
	s_mov_b64 exec, s[20:21]                                   // 00000000D42C: BEFE0114
	global_atomic_add_f32 v6, v179, s[8:9] offset:8            // 00000000D430: DD348008 0008B306
	global_atomic_add_f32 v6, v183, s[8:9] offset:264          // 00000000D438: DD348108 0008B706
	s_mov_b64 exec, s[36:37]                                   // 00000000D440: BEFE0124
	v_mov_b32_e32 v6, v72                                      // 00000000D444: 7E0C0348
	s_mov_b64 s[60:61], 0                                      // 00000000D448: BEBC0180
	v_readlane_b32 s82, v3, 12                                 // 00000000D44C: D2890052 00011903
	s_and_b32 s82, s82, 0xffffff                               // 00000000D454: 8652FF52 00FFFFFF
	s_cmp_lt_u32 s82, s66                                      // 00000000D45C: BF0A4252
	s_cselect_b32 s20, s36, s60                                // 00000000D460: 85143C24
	v_readlane_b32 s82, v3, 13                                 // 00000000D464: D2890052 00011B03
	s_and_b32 s82, s82, 0xffffff                               // 00000000D46C: 8652FF52 00FFFFFF
	s_cmp_lt_u32 s82, s66                                      // 00000000D474: BF0A4252
	s_cselect_b32 s21, s36, s60                                // 00000000D478: 85153C24
	s_mov_b64 exec, s[20:21]                                   // 00000000D47C: BEFE0114
	global_atomic_add_f32 v6, v186, s[8:9] offset:8            // 00000000D480: DD348008 0008BA06
	global_atomic_add_f32 v6, v190, s[8:9] offset:264          // 00000000D488: DD348108 0008BE06
	s_mov_b64 exec, s[36:37]                                   // 00000000D490: BEFE0124
	v_mov_b32_e32 v6, v73                                      // 00000000D494: 7E0C0349
	s_mov_b64 s[60:61], 0                                      // 00000000D498: BEBC0180
	v_readlane_b32 s82, v3, 14                                 // 00000000D49C: D2890052 00011D03
	s_and_b32 s82, s82, 0xffffff                               // 00000000D4A4: 8652FF52 00FFFFFF
	s_cmp_lt_u32 s82, s66                                      // 00000000D4AC: BF0A4252
	s_cselect_b32 s20, s36, s60                                // 00000000D4B0: 85143C24
	v_readlane_b32 s82, v3, 15                                 // 00000000D4B4: D2890052 00011F03
	s_and_b32 s82, s82, 0xffffff                               // 00000000D4BC: 8652FF52 00FFFFFF
	s_cmp_lt_u32 s82, s66                                      // 00000000D4C4: BF0A4252
	s_cselect_b32 s21, s36, s60                                // 00000000D4C8: 85153C24
	s_mov_b64 exec, s[20:21]                                   // 00000000D4CC: BEFE0114
	global_atomic_add_f32 v6, v187, s[8:9] offset:8            // 00000000D4D0: DD348008 0008BB06
	global_atomic_add_f32 v6, v191, s[8:9] offset:264          // 00000000D4D8: DD348108 0008BF06
	s_mov_b64 exec, s[36:37]                                   // 00000000D4E0: BEFE0124
	v_mov_b32_e32 v6, v74                                      // 00000000D4E4: 7E0C034A
	s_mov_b64 s[60:61], 0                                      // 00000000D4E8: BEBC0180
	v_readlane_b32 s82, v3, 16                                 // 00000000D4EC: D2890052 00012103
	s_and_b32 s82, s82, 0xffffff                               // 00000000D4F4: 8652FF52 00FFFFFF
	s_cmp_lt_u32 s82, s66                                      // 00000000D4FC: BF0A4252
	s_cselect_b32 s20, s36, s60                                // 00000000D500: 85143C24
	v_readlane_b32 s82, v3, 17                                 // 00000000D504: D2890052 00012303
	s_and_b32 s82, s82, 0xffffff                               // 00000000D50C: 8652FF52 00FFFFFF
	s_cmp_lt_u32 s82, s66                                      // 00000000D514: BF0A4252
	s_cselect_b32 s21, s36, s60                                // 00000000D518: 85153C24
	s_mov_b64 exec, s[20:21]                                   // 00000000D51C: BEFE0114
	global_atomic_add_f32 v6, v194, s[8:9] offset:8            // 00000000D520: DD348008 0008C206
	global_atomic_add_f32 v6, v198, s[8:9] offset:264          // 00000000D528: DD348108 0008C606
	s_mov_b64 exec, s[36:37]                                   // 00000000D530: BEFE0124
	v_mov_b32_e32 v6, v75                                      // 00000000D534: 7E0C034B
	s_mov_b64 s[60:61], 0                                      // 00000000D538: BEBC0180
	v_readlane_b32 s82, v3, 18                                 // 00000000D53C: D2890052 00012503
	s_and_b32 s82, s82, 0xffffff                               // 00000000D544: 8652FF52 00FFFFFF
	s_cmp_lt_u32 s82, s66                                      // 00000000D54C: BF0A4252
	s_cselect_b32 s20, s36, s60                                // 00000000D550: 85143C24
	v_readlane_b32 s82, v3, 19                                 // 00000000D554: D2890052 00012703
	s_and_b32 s82, s82, 0xffffff                               // 00000000D55C: 8652FF52 00FFFFFF
	s_cmp_lt_u32 s82, s66                                      // 00000000D564: BF0A4252
	s_cselect_b32 s21, s36, s60                                // 00000000D568: 85153C24
	s_mov_b64 exec, s[20:21]                                   // 00000000D56C: BEFE0114
	global_atomic_add_f32 v6, v195, s[8:9] offset:8            // 00000000D570: DD348008 0008C306
	global_atomic_add_f32 v6, v199, s[8:9] offset:264          // 00000000D578: DD348108 0008C706
	s_mov_b64 exec, s[36:37]                                   // 00000000D580: BEFE0124
	v_mov_b32_e32 v6, v76                                      // 00000000D584: 7E0C034C
	s_mov_b64 s[60:61], 0                                      // 00000000D588: BEBC0180
	v_readlane_b32 s82, v3, 20                                 // 00000000D58C: D2890052 00012903
	s_and_b32 s82, s82, 0xffffff                               // 00000000D594: 8652FF52 00FFFFFF
	s_cmp_lt_u32 s82, s66                                      // 00000000D59C: BF0A4252
	s_cselect_b32 s20, s36, s60                                // 00000000D5A0: 85143C24
	v_readlane_b32 s82, v3, 21                                 // 00000000D5A4: D2890052 00012B03
	s_and_b32 s82, s82, 0xffffff                               // 00000000D5AC: 8652FF52 00FFFFFF
	s_cmp_lt_u32 s82, s66                                      // 00000000D5B4: BF0A4252
	s_cselect_b32 s21, s36, s60                                // 00000000D5B8: 85153C24
	s_mov_b64 exec, s[20:21]                                   // 00000000D5BC: BEFE0114
	global_atomic_add_f32 v6, v202, s[8:9] offset:8            // 00000000D5C0: DD348008 0008CA06
	global_atomic_add_f32 v6, v206, s[8:9] offset:264          // 00000000D5C8: DD348108 0008CE06
	s_mov_b64 exec, s[36:37]                                   // 00000000D5D0: BEFE0124
	v_mov_b32_e32 v6, v77                                      // 00000000D5D4: 7E0C034D
	s_mov_b64 s[60:61], 0                                      // 00000000D5D8: BEBC0180
	v_readlane_b32 s82, v3, 22                                 // 00000000D5DC: D2890052 00012D03
	s_and_b32 s82, s82, 0xffffff                               // 00000000D5E4: 8652FF52 00FFFFFF
	s_cmp_lt_u32 s82, s66                                      // 00000000D5EC: BF0A4252
	s_cselect_b32 s20, s36, s60                                // 00000000D5F0: 85143C24
	v_readlane_b32 s82, v3, 23                                 // 00000000D5F4: D2890052 00012F03
	s_and_b32 s82, s82, 0xffffff                               // 00000000D5FC: 8652FF52 00FFFFFF
	s_cmp_lt_u32 s82, s66                                      // 00000000D604: BF0A4252
	s_cselect_b32 s21, s36, s60                                // 00000000D608: 85153C24
	s_mov_b64 exec, s[20:21]                                   // 00000000D60C: BEFE0114
	global_atomic_add_f32 v6, v203, s[8:9] offset:8            // 00000000D610: DD348008 0008CB06
	global_atomic_add_f32 v6, v207, s[8:9] offset:264          // 00000000D618: DD348108 0008CF06
	s_mov_b64 exec, s[36:37]                                   // 00000000D620: BEFE0124
	v_mov_b32_e32 v6, v78                                      // 00000000D624: 7E0C034E
	s_mov_b64 s[60:61], 0                                      // 00000000D628: BEBC0180
	v_readlane_b32 s82, v3, 24                                 // 00000000D62C: D2890052 00013103
	s_and_b32 s82, s82, 0xffffff                               // 00000000D634: 8652FF52 00FFFFFF
	s_cmp_lt_u32 s82, s66                                      // 00000000D63C: BF0A4252
	s_cselect_b32 s20, s36, s60                                // 00000000D640: 85143C24
	v_readlane_b32 s82, v3, 25                                 // 00000000D644: D2890052 00013303
	s_and_b32 s82, s82, 0xffffff                               // 00000000D64C: 8652FF52 00FFFFFF
	s_cmp_lt_u32 s82, s66                                      // 00000000D654: BF0A4252
	s_cselect_b32 s21, s36, s60                                // 00000000D658: 85153C24
	s_mov_b64 exec, s[20:21]                                   // 00000000D65C: BEFE0114
	global_atomic_add_f32 v6, v210, s[8:9] offset:8            // 00000000D660: DD348008 0008D206
	global_atomic_add_f32 v6, v214, s[8:9] offset:264          // 00000000D668: DD348108 0008D606
	s_mov_b64 exec, s[36:37]                                   // 00000000D670: BEFE0124
	v_mov_b32_e32 v6, v79                                      // 00000000D674: 7E0C034F
	s_mov_b64 s[60:61], 0                                      // 00000000D678: BEBC0180
	v_readlane_b32 s82, v3, 26                                 // 00000000D67C: D2890052 00013503
	s_and_b32 s82, s82, 0xffffff                               // 00000000D684: 8652FF52 00FFFFFF
	s_cmp_lt_u32 s82, s66                                      // 00000000D68C: BF0A4252
	s_cselect_b32 s20, s36, s60                                // 00000000D690: 85143C24
	v_readlane_b32 s82, v3, 27                                 // 00000000D694: D2890052 00013703
	s_and_b32 s82, s82, 0xffffff                               // 00000000D69C: 8652FF52 00FFFFFF
	s_cmp_lt_u32 s82, s66                                      // 00000000D6A4: BF0A4252
	s_cselect_b32 s21, s36, s60                                // 00000000D6A8: 85153C24
	s_mov_b64 exec, s[20:21]                                   // 00000000D6AC: BEFE0114
	global_atomic_add_f32 v6, v211, s[8:9] offset:8            // 00000000D6B0: DD348008 0008D306
	global_atomic_add_f32 v6, v215, s[8:9] offset:264          // 00000000D6B8: DD348108 0008D706
	s_mov_b64 exec, s[36:37]                                   // 00000000D6C0: BEFE0124
	v_mov_b32_e32 v6, v80                                      // 00000000D6C4: 7E0C0350
	s_mov_b64 s[60:61], 0                                      // 00000000D6C8: BEBC0180
	v_readlane_b32 s82, v3, 28                                 // 00000000D6CC: D2890052 00013903
	s_and_b32 s82, s82, 0xffffff                               // 00000000D6D4: 8652FF52 00FFFFFF
	s_cmp_lt_u32 s82, s66                                      // 00000000D6DC: BF0A4252
	s_cselect_b32 s20, s36, s60                                // 00000000D6E0: 85143C24
	v_readlane_b32 s82, v3, 29                                 // 00000000D6E4: D2890052 00013B03
	s_and_b32 s82, s82, 0xffffff                               // 00000000D6EC: 8652FF52 00FFFFFF
	s_cmp_lt_u32 s82, s66                                      // 00000000D6F4: BF0A4252
	s_cselect_b32 s21, s36, s60                                // 00000000D6F8: 85153C24
	s_mov_b64 exec, s[20:21]                                   // 00000000D6FC: BEFE0114
	global_atomic_add_f32 v6, v218, s[8:9] offset:8            // 00000000D700: DD348008 0008DA06
	global_atomic_add_f32 v6, v222, s[8:9] offset:264          // 00000000D708: DD348108 0008DE06
	s_mov_b64 exec, s[36:37]                                   // 00000000D710: BEFE0124
	v_mov_b32_e32 v6, v81                                      // 00000000D714: 7E0C0351
	s_mov_b64 s[60:61], 0                                      // 00000000D718: BEBC0180
	v_readlane_b32 s82, v3, 30                                 // 00000000D71C: D2890052 00013D03
	s_and_b32 s82, s82, 0xffffff                               // 00000000D724: 8652FF52 00FFFFFF
	s_cmp_lt_u32 s82, s66                                      // 00000000D72C: BF0A4252
	s_cselect_b32 s20, s36, s60                                // 00000000D730: 85143C24
	v_readlane_b32 s82, v3, 31                                 // 00000000D734: D2890052 00013F03
	s_and_b32 s82, s82, 0xffffff                               // 00000000D73C: 8652FF52 00FFFFFF
	s_cmp_lt_u32 s82, s66                                      // 00000000D744: BF0A4252
	s_cselect_b32 s21, s36, s60                                // 00000000D748: 85153C24
	s_mov_b64 exec, s[20:21]                                   // 00000000D74C: BEFE0114
	global_atomic_add_f32 v6, v219, s[8:9] offset:8            // 00000000D750: DD348008 0008DB06
	global_atomic_add_f32 v6, v223, s[8:9] offset:264          // 00000000D758: DD348108 0008DF06
	s_mov_b64 exec, s[36:37]                                   // 00000000D760: BEFE0124
	v_mov_b32_e32 v6, v82                                      // 00000000D764: 7E0C0352
	s_mov_b64 s[60:61], 0                                      // 00000000D768: BEBC0180
	v_readlane_b32 s82, v3, 32                                 // 00000000D76C: D2890052 00014103
	s_and_b32 s82, s82, 0xffffff                               // 00000000D774: 8652FF52 00FFFFFF
	s_cmp_lt_u32 s82, s66                                      // 00000000D77C: BF0A4252
	s_cselect_b32 s20, s36, s60                                // 00000000D780: 85143C24
	v_readlane_b32 s82, v3, 33                                 // 00000000D784: D2890052 00014303
	s_and_b32 s82, s82, 0xffffff                               // 00000000D78C: 8652FF52 00FFFFFF
	s_cmp_lt_u32 s82, s66                                      // 00000000D794: BF0A4252
	s_cselect_b32 s21, s36, s60                                // 00000000D798: 85153C24
	s_mov_b64 exec, s[20:21]                                   // 00000000D79C: BEFE0114
	global_atomic_add_f32 v6, v226, s[8:9] offset:8            // 00000000D7A0: DD348008 0008E206
	global_atomic_add_f32 v6, v230, s[8:9] offset:264          // 00000000D7A8: DD348108 0008E606
	s_mov_b64 exec, s[36:37]                                   // 00000000D7B0: BEFE0124
	v_mov_b32_e32 v6, v83                                      // 00000000D7B4: 7E0C0353
	s_mov_b64 s[60:61], 0                                      // 00000000D7B8: BEBC0180
	v_readlane_b32 s82, v3, 34                                 // 00000000D7BC: D2890052 00014503
	s_and_b32 s82, s82, 0xffffff                               // 00000000D7C4: 8652FF52 00FFFFFF
	s_cmp_lt_u32 s82, s66                                      // 00000000D7CC: BF0A4252
	s_cselect_b32 s20, s36, s60                                // 00000000D7D0: 85143C24
	v_readlane_b32 s82, v3, 35                                 // 00000000D7D4: D2890052 00014703
	s_and_b32 s82, s82, 0xffffff                               // 00000000D7DC: 8652FF52 00FFFFFF
	s_cmp_lt_u32 s82, s66                                      // 00000000D7E4: BF0A4252
	s_cselect_b32 s21, s36, s60                                // 00000000D7E8: 85153C24
	s_mov_b64 exec, s[20:21]                                   // 00000000D7EC: BEFE0114
	global_atomic_add_f32 v6, v227, s[8:9] offset:8            // 00000000D7F0: DD348008 0008E306
	global_atomic_add_f32 v6, v231, s[8:9] offset:264          // 00000000D7F8: DD348108 0008E706
	s_mov_b64 exec, s[36:37]                                   // 00000000D800: BEFE0124
	s_branch label_5300                                        // 00000000D804: BF82277B

000000000000d808 <label_2B85>:
	s_waitcnt vmcnt(32) lgkmcnt(0)                             // 00000000D808: BF8C8070
	v_mul_f32_dpp v4, v24, v39 row_newbcast:0 row_mask:0xf bank_mask:0xf// 00000000D80C: 0A084EFA FF015018
	v_mfma_f32_16x16x32_fp8_fp8 v[8:11], a[144:145], a[0:1], 0 // 00000000D814: D3F30008 1A020190
	buffer_load_dword v25, v22, s[32:35], 0 offen              // 00000000D81C: E0501000 80081916
	buffer_load_dwordx4 a[176:179], v84, s[24:27], 0 offen     // 00000000D824: E05C1000 8086B054
	v_mfma_f32_16x16x32_fp8_fp8 v[8:11], a[146:147], a[2:3], v[8:11]// 00000000D82C: D3F30008 1C220592
	v_mfma_f32_16x16x32_fp8_fp8 v[8:11], a[148:149], a[4:5], v[8:11]// 00000000D834: D3F30008 1C220994
	v_mfma_f32_16x16x32_fp8_fp8 v[8:11], a[150:151], a[6:7], v[8:11]// 00000000D83C: D3F30008 1C220D96
	v_mfma_f32_16x16x32_fp8_fp8 v[12:15], a[152:153], a[0:1], 0// 00000000D844: D3F3000C 1A020198
	buffer_load_dwordx4 a[180:183], v84, s[24:27], 0 offen offset:1024// 00000000D84C: E05C1400 8086B454
	v_mfma_f32_16x16x32_fp8_fp8 v[12:15], a[154:155], a[2:3], v[12:15]// 00000000D854: D3F3000C 1C32059A
	v_mfma_f32_16x16x32_fp8_fp8 v[12:15], a[156:157], a[4:5], v[12:15]// 00000000D85C: D3F3000C 1C32099C
	v_mfma_f32_16x16x32_fp8_fp8 v[12:15], a[158:159], a[6:7], v[12:15]// 00000000D864: D3F3000C 1C320D9E
	v_fma_f32 v88, v8, v4, v88                                 // 00000000D86C: D1CB0058 05620908
	v_fma_f32 v89, v9, v4, v89                                 // 00000000D874: D1CB0059 05660909
	v_fma_f32 v90, v10, v4, v90                                // 00000000D87C: D1CB005A 056A090A
	v_fma_f32 v91, v11, v4, v91                                // 00000000D884: D1CB005B 056E090B
	v_mul_f32_dpp v6, v24, v40 row_newbcast:0 row_mask:0xf bank_mask:0xf// 00000000D88C: 0A0C50FA FF015018
	v_mfma_f32_16x16x32_fp8_fp8 v[8:11], a[144:145], a[8:9], 0 // 00000000D894: D3F30008 1A021190
	buffer_load_dwordx4 a[184:187], v85, s[24:27], 0 offen     // 00000000D89C: E05C1000 8086B855
	v_mfma_f32_16x16x32_fp8_fp8 v[8:11], a[146:147], a[10:11], v[8:11]// 00000000D8A4: D3F30008 1C221592
	v_mfma_f32_16x16x32_fp8_fp8 v[8:11], a[148:149], a[12:13], v[8:11]// 00000000D8AC: D3F30008 1C221994
	v_mfma_f32_16x16x32_fp8_fp8 v[8:11], a[150:151], a[14:15], v[8:11]// 00000000D8B4: D3F30008 1C221D96
	v_fma_f32 v124, v12, v4, v124                              // 00000000D8BC: D1CB007C 05F2090C
	v_fma_f32 v125, v13, v4, v125                              // 00000000D8C4: D1CB007D 05F6090D
	v_fma_f32 v126, v14, v4, v126                              // 00000000D8CC: D1CB007E 05FA090E
	v_fma_f32 v127, v15, v4, v127                              // 00000000D8D4: D1CB007F 05FE090F
	v_mfma_f32_16x16x32_fp8_fp8 v[12:15], a[152:153], a[8:9], 0// 00000000D8DC: D3F3000C 1A021198
	buffer_load_dwordx4 a[188:191], v85, s[24:27], 0 offen offset:1024// 00000000D8E4: E05C1400 8086BC55
	buffer_load_dword v66, s[20:23], 0 offen lds               // 00000000D8EC: E0511000 80050042
	s_add_u32 m0, 0x100, s50                                   // 00000000D8F4: 807C32FF 00000100
	v_mfma_f32_16x16x32_fp8_fp8 v[12:15], a[154:155], a[10:11], v[12:15]// 00000000D8FC: D3F3000C 1C32159A
	v_mfma_f32_16x16x32_fp8_fp8 v[12:15], a[156:157], a[12:13], v[12:15]// 00000000D904: D3F3000C 1C32199C
	buffer_load_dword v67, s[20:23], 0 offen lds               // 00000000D90C: E0511000 80050043
	s_add_u32 m0, 0x200, s50                                   // 00000000D914: 807C32FF 00000200
	v_mfma_f32_16x16x32_fp8_fp8 v[12:15], a[158:159], a[14:15], v[12:15]// 00000000D91C: D3F3000C 1C321D9E
	v_fma_f32 v92, v8, v6, v92                                 // 00000000D924: D1CB005C 05720D08
	v_fma_f32 v93, v9, v6, v93                                 // 00000000D92C: D1CB005D 05760D09
	v_fma_f32 v94, v10, v6, v94                                // 00000000D934: D1CB005E 057A0D0A
	v_fma_f32 v95, v11, v6, v95                                // 00000000D93C: D1CB005F 057E0D0B
	v_mul_f32_dpp v4, v24, v41 row_newbcast:0 row_mask:0xf bank_mask:0xf// 00000000D944: 0A0852FA FF015018
	v_mfma_f32_16x16x32_fp8_fp8 v[8:11], a[144:145], a[16:17], 0// 00000000D94C: D3F30008 1A022190
	buffer_load_dword v68, s[20:23], 0 offen lds               // 00000000D954: E0511000 80050044
	s_add_u32 m0, 0x300, s50                                   // 00000000D95C: 807C32FF 00000300
	v_mfma_f32_16x16x32_fp8_fp8 v[8:11], a[146:147], a[18:19], v[8:11]// 00000000D964: D3F30008 1C222592
	v_mfma_f32_16x16x32_fp8_fp8 v[8:11], a[148:149], a[20:21], v[8:11]// 00000000D96C: D3F30008 1C222994
	buffer_load_dword v69, s[20:23], 0 offen lds               // 00000000D974: E0511000 80050045
	s_add_u32 m0, 0x400, s50                                   // 00000000D97C: 807C32FF 00000400
	v_mfma_f32_16x16x32_fp8_fp8 v[8:11], a[150:151], a[22:23], v[8:11]// 00000000D984: D3F30008 1C222D96
	v_fma_f32 v128, v12, v6, v128                              // 00000000D98C: D1CB0080 06020D0C
	v_fma_f32 v129, v13, v6, v129                              // 00000000D994: D1CB0081 06060D0D
	v_fma_f32 v130, v14, v6, v130                              // 00000000D99C: D1CB0082 060A0D0E
	v_fma_f32 v131, v15, v6, v131                              // 00000000D9A4: D1CB0083 060E0D0F
	v_mfma_f32_16x16x32_fp8_fp8 v[12:15], a[152:153], a[16:17], 0// 00000000D9AC: D3F3000C 1A022198
	buffer_load_dword v70, s[20:23], 0 offen lds               // 00000000D9B4: E0511000 80050046
	s_add_u32 m0, 0x500, s50                                   // 00000000D9BC: 807C32FF 00000500
	v_mfma_f32_16x16x32_fp8_fp8 v[12:15], a[154:155], a[18:19], v[12:15]// 00000000D9C4: D3F3000C 1C32259A
	v_mfma_f32_16x16x32_fp8_fp8 v[12:15], a[156:157], a[20:21], v[12:15]// 00000000D9CC: D3F3000C 1C32299C
	buffer_load_dword v71, s[20:23], 0 offen lds               // 00000000D9D4: E0511000 80050047
	s_add_u32 m0, 0x600, s50                                   // 00000000D9DC: 807C32FF 00000600
	v_mfma_f32_16x16x32_fp8_fp8 v[12:15], a[158:159], a[22:23], v[12:15]// 00000000D9E4: D3F3000C 1C322D9E
	v_fma_f32 v96, v8, v4, v96                                 // 00000000D9EC: D1CB0060 05820908
	v_fma_f32 v97, v9, v4, v97                                 // 00000000D9F4: D1CB0061 05860909
	v_fma_f32 v98, v10, v4, v98                                // 00000000D9FC: D1CB0062 058A090A
	v_fma_f32 v99, v11, v4, v99                                // 00000000DA04: D1CB0063 058E090B
	v_mul_f32_dpp v6, v24, v42 row_newbcast:0 row_mask:0xf bank_mask:0xf// 00000000DA0C: 0A0C54FA FF015018
	v_mfma_f32_16x16x32_fp8_fp8 v[8:11], a[144:145], a[24:25], 0// 00000000DA14: D3F30008 1A023190
	buffer_load_dword v72, s[20:23], 0 offen lds               // 00000000DA1C: E0511000 80050048
	s_add_u32 m0, 0x700, s50                                   // 00000000DA24: 807C32FF 00000700
	v_mfma_f32_16x16x32_fp8_fp8 v[8:11], a[146:147], a[26:27], v[8:11]// 00000000DA2C: D3F30008 1C223592
	v_mfma_f32_16x16x32_fp8_fp8 v[8:11], a[148:149], a[28:29], v[8:11]// 00000000DA34: D3F30008 1C223994
	buffer_load_dword v73, s[20:23], 0 offen lds               // 00000000DA3C: E0511000 80050049
	s_add_u32 m0, 0x800, s50                                   // 00000000DA44: 807C32FF 00000800
	v_mfma_f32_16x16x32_fp8_fp8 v[8:11], a[150:151], a[30:31], v[8:11]// 00000000DA4C: D3F30008 1C223D96
	v_fma_f32 v132, v12, v4, v132                              // 00000000DA54: D1CB0084 0612090C
	v_fma_f32 v133, v13, v4, v133                              // 00000000DA5C: D1CB0085 0616090D
	v_fma_f32 v134, v14, v4, v134                              // 00000000DA64: D1CB0086 061A090E
	v_fma_f32 v135, v15, v4, v135                              // 00000000DA6C: D1CB0087 061E090F
	v_mfma_f32_16x16x32_fp8_fp8 v[12:15], a[152:153], a[24:25], 0// 00000000DA74: D3F3000C 1A023198
	buffer_load_dword v74, s[20:23], 0 offen lds               // 00000000DA7C: E0511000 8005004A
	s_add_u32 m0, 0x900, s50                                   // 00000000DA84: 807C32FF 00000900
	v_mfma_f32_16x16x32_fp8_fp8 v[12:15], a[154:155], a[26:27], v[12:15]// 00000000DA8C: D3F3000C 1C32359A
	v_mfma_f32_16x16x32_fp8_fp8 v[12:15], a[156:157], a[28:29], v[12:15]// 00000000DA94: D3F3000C 1C32399C
	buffer_load_dword v75, s[20:23], 0 offen lds               // 00000000DA9C: E0511000 8005004B
	s_add_u32 m0, 0xa00, s50                                   // 00000000DAA4: 807C32FF 00000A00
	v_mfma_f32_16x16x32_fp8_fp8 v[12:15], a[158:159], a[30:31], v[12:15]// 00000000DAAC: D3F3000C 1C323D9E
	v_fma_f32 v100, v8, v6, v100                               // 00000000DAB4: D1CB0064 05920D08
	v_fma_f32 v101, v9, v6, v101                               // 00000000DABC: D1CB0065 05960D09
	v_fma_f32 v102, v10, v6, v102                              // 00000000DAC4: D1CB0066 059A0D0A
	v_fma_f32 v103, v11, v6, v103                              // 00000000DACC: D1CB0067 059E0D0B
	v_mul_f32_dpp v4, v24, v43 row_newbcast:0 row_mask:0xf bank_mask:0xf// 00000000DAD4: 0A0856FA FF015018
	v_mfma_f32_16x16x32_fp8_fp8 v[8:11], a[144:145], a[32:33], 0// 00000000DADC: D3F30008 1A024190
	buffer_load_dword v76, s[20:23], 0 offen lds               // 00000000DAE4: E0511000 8005004C
	s_add_u32 m0, 0xb00, s50                                   // 00000000DAEC: 807C32FF 00000B00
	v_mfma_f32_16x16x32_fp8_fp8 v[8:11], a[146:147], a[34:35], v[8:11]// 00000000DAF4: D3F30008 1C224592
	v_mfma_f32_16x16x32_fp8_fp8 v[8:11], a[148:149], a[36:37], v[8:11]// 00000000DAFC: D3F30008 1C224994
	buffer_load_dword v77, s[20:23], 0 offen lds               // 00000000DB04: E0511000 8005004D
	s_add_u32 m0, 0xc00, s50                                   // 00000000DB0C: 807C32FF 00000C00
	v_mfma_f32_16x16x32_fp8_fp8 v[8:11], a[150:151], a[38:39], v[8:11]// 00000000DB14: D3F30008 1C224D96
	v_fma_f32 v136, v12, v6, v136                              // 00000000DB1C: D1CB0088 06220D0C
	v_fma_f32 v137, v13, v6, v137                              // 00000000DB24: D1CB0089 06260D0D
	v_fma_f32 v138, v14, v6, v138                              // 00000000DB2C: D1CB008A 062A0D0E
	v_fma_f32 v139, v15, v6, v139                              // 00000000DB34: D1CB008B 062E0D0F
	v_mfma_f32_16x16x32_fp8_fp8 v[12:15], a[152:153], a[32:33], 0// 00000000DB3C: D3F3000C 1A024198
	buffer_load_dword v78, s[20:23], 0 offen lds               // 00000000DB44: E0511000 8005004E
	s_add_u32 m0, 0xd00, s50                                   // 00000000DB4C: 807C32FF 00000D00
	v_mfma_f32_16x16x32_fp8_fp8 v[12:15], a[154:155], a[34:35], v[12:15]// 00000000DB54: D3F3000C 1C32459A
	v_mfma_f32_16x16x32_fp8_fp8 v[12:15], a[156:157], a[36:37], v[12:15]// 00000000DB5C: D3F3000C 1C32499C
	buffer_load_dword v79, s[20:23], 0 offen lds               // 00000000DB64: E0511000 8005004F
	s_add_u32 m0, 0xe00, s50                                   // 00000000DB6C: 807C32FF 00000E00
	v_mfma_f32_16x16x32_fp8_fp8 v[12:15], a[158:159], a[38:39], v[12:15]// 00000000DB74: D3F3000C 1C324D9E
	v_fma_f32 v104, v8, v4, v104                               // 00000000DB7C: D1CB0068 05A20908
	v_fma_f32 v105, v9, v4, v105                               // 00000000DB84: D1CB0069 05A60909
	v_fma_f32 v106, v10, v4, v106                              // 00000000DB8C: D1CB006A 05AA090A
	v_fma_f32 v107, v11, v4, v107                              // 00000000DB94: D1CB006B 05AE090B
	v_mul_f32_dpp v6, v24, v44 row_newbcast:0 row_mask:0xf bank_mask:0xf// 00000000DB9C: 0A0C58FA FF015018
	v_mfma_f32_16x16x32_fp8_fp8 v[8:11], a[144:145], a[40:41], 0// 00000000DBA4: D3F30008 1A025190
	buffer_load_dword v80, s[20:23], 0 offen lds               // 00000000DBAC: E0511000 80050050
	s_add_u32 m0, 0xf00, s50                                   // 00000000DBB4: 807C32FF 00000F00
	v_mfma_f32_16x16x32_fp8_fp8 v[8:11], a[146:147], a[42:43], v[8:11]// 00000000DBBC: D3F30008 1C225592
	v_mfma_f32_16x16x32_fp8_fp8 v[8:11], a[148:149], a[44:45], v[8:11]// 00000000DBC4: D3F30008 1C225994
	buffer_load_dword v81, s[20:23], 0 offen lds               // 00000000DBCC: E0511000 80050051
	s_add_u32 m0, 0x1000, s50                                  // 00000000DBD4: 807C32FF 00001000
	v_mfma_f32_16x16x32_fp8_fp8 v[8:11], a[150:151], a[46:47], v[8:11]// 00000000DBDC: D3F30008 1C225D96
	v_fma_f32 v140, v12, v4, v140                              // 00000000DBE4: D1CB008C 0632090C
	v_fma_f32 v141, v13, v4, v141                              // 00000000DBEC: D1CB008D 0636090D
	v_fma_f32 v142, v14, v4, v142                              // 00000000DBF4: D1CB008E 063A090E
	v_fma_f32 v143, v15, v4, v143                              // 00000000DBFC: D1CB008F 063E090F
	v_mfma_f32_16x16x32_fp8_fp8 v[12:15], a[152:153], a[40:41], 0// 00000000DC04: D3F3000C 1A025198
	buffer_load_dword v82, s[20:23], 0 offen lds               // 00000000DC0C: E0511000 80050052
	s_add_u32 m0, 0x1100, s50                                  // 00000000DC14: 807C32FF 00001100
	v_mfma_f32_16x16x32_fp8_fp8 v[12:15], a[154:155], a[42:43], v[12:15]// 00000000DC1C: D3F3000C 1C32559A
	v_mfma_f32_16x16x32_fp8_fp8 v[12:15], a[156:157], a[44:45], v[12:15]// 00000000DC24: D3F3000C 1C32599C
	buffer_load_dword v83, s[20:23], 0 offen lds               // 00000000DC2C: E0511000 80050053
	s_add_u32 m0, 0, s48                                       // 00000000DC34: 807C3080
	v_mfma_f32_16x16x32_fp8_fp8 v[12:15], a[158:159], a[46:47], v[12:15]// 00000000DC38: D3F3000C 1C325D9E
	v_fma_f32 v108, v8, v6, v108                               // 00000000DC40: D1CB006C 05B20D08
	v_fma_f32 v109, v9, v6, v109                               // 00000000DC48: D1CB006D 05B60D09
	v_fma_f32 v110, v10, v6, v110                              // 00000000DC50: D1CB006E 05BA0D0A
	v_fma_f32 v111, v11, v6, v111                              // 00000000DC58: D1CB006F 05BE0D0B
	v_mul_f32_dpp v4, v24, v45 row_newbcast:0 row_mask:0xf bank_mask:0xf// 00000000DC60: 0A085AFA FF015018
	v_mfma_f32_16x16x32_fp8_fp8 v[8:11], a[144:145], a[48:49], 0// 00000000DC68: D3F30008 1A026190
	buffer_load_dword v57, v30, s[28:31], 0 offen              // 00000000DC70: E0501000 8007391E
	v_mfma_f32_16x16x32_fp8_fp8 v[8:11], a[146:147], a[50:51], v[8:11]// 00000000DC78: D3F30008 1C226592
	v_mfma_f32_16x16x32_fp8_fp8 v[8:11], a[148:149], a[52:53], v[8:11]// 00000000DC80: D3F30008 1C226994
	buffer_load_dword v58, v31, s[28:31], 0 offen              // 00000000DC88: E0501000 80073A1F
	v_mfma_f32_16x16x32_fp8_fp8 v[8:11], a[150:151], a[54:55], v[8:11]// 00000000DC90: D3F30008 1C226D96
	v_fma_f32 v144, v12, v6, v144                              // 00000000DC98: D1CB0090 06420D0C
	v_fma_f32 v145, v13, v6, v145                              // 00000000DCA0: D1CB0091 06460D0D
	v_fma_f32 v146, v14, v6, v146                              // 00000000DCA8: D1CB0092 064A0D0E
	v_fma_f32 v147, v15, v6, v147                              // 00000000DCB0: D1CB0093 064E0D0F
	v_mfma_f32_16x16x32_fp8_fp8 v[12:15], a[152:153], a[48:49], 0// 00000000DCB8: D3F3000C 1A026198
	buffer_load_dword v59, v32, s[28:31], 0 offen              // 00000000DCC0: E0501000 80073B20
	v_mfma_f32_16x16x32_fp8_fp8 v[12:15], a[154:155], a[50:51], v[12:15]// 00000000DCC8: D3F3000C 1C32659A
	v_mfma_f32_16x16x32_fp8_fp8 v[12:15], a[156:157], a[52:53], v[12:15]// 00000000DCD0: D3F3000C 1C32699C
	buffer_load_dword v60, v33, s[28:31], 0 offen              // 00000000DCD8: E0501000 80073C21
	v_mfma_f32_16x16x32_fp8_fp8 v[12:15], a[158:159], a[54:55], v[12:15]// 00000000DCE0: D3F3000C 1C326D9E
	v_fma_f32 v112, v8, v4, v112                               // 00000000DCE8: D1CB0070 05C20908
	v_fma_f32 v113, v9, v4, v113                               // 00000000DCF0: D1CB0071 05C60909
	v_fma_f32 v114, v10, v4, v114                              // 00000000DCF8: D1CB0072 05CA090A
	v_fma_f32 v115, v11, v4, v115                              // 00000000DD00: D1CB0073 05CE090B
	v_mul_f32_dpp v6, v24, v46 row_newbcast:0 row_mask:0xf bank_mask:0xf// 00000000DD08: 0A0C5CFA FF015018
	v_mfma_f32_16x16x32_fp8_fp8 v[8:11], a[144:145], a[56:57], 0// 00000000DD10: D3F30008 1A027190
	buffer_load_dword v61, v34, s[28:31], 0 offen              // 00000000DD18: E0501000 80073D22
	v_mfma_f32_16x16x32_fp8_fp8 v[8:11], a[146:147], a[58:59], v[8:11]// 00000000DD20: D3F30008 1C227592
	v_mfma_f32_16x16x32_fp8_fp8 v[8:11], a[148:149], a[60:61], v[8:11]// 00000000DD28: D3F30008 1C227994
	buffer_load_dword v62, v35, s[28:31], 0 offen              // 00000000DD30: E0501000 80073E23
	v_mfma_f32_16x16x32_fp8_fp8 v[8:11], a[150:151], a[62:63], v[8:11]// 00000000DD38: D3F30008 1C227D96
	v_fma_f32 v148, v12, v4, v148                              // 00000000DD40: D1CB0094 0652090C
	v_fma_f32 v149, v13, v4, v149                              // 00000000DD48: D1CB0095 0656090D
	v_fma_f32 v150, v14, v4, v150                              // 00000000DD50: D1CB0096 065A090E
	v_fma_f32 v151, v15, v4, v151                              // 00000000DD58: D1CB0097 065E090F
	v_mfma_f32_16x16x32_fp8_fp8 v[12:15], a[152:153], a[56:57], 0// 00000000DD60: D3F3000C 1A027198
	buffer_load_dword v63, v36, s[28:31], 0 offen              // 00000000DD68: E0501000 80073F24
	v_mfma_f32_16x16x32_fp8_fp8 v[12:15], a[154:155], a[58:59], v[12:15]// 00000000DD70: D3F3000C 1C32759A
	v_mfma_f32_16x16x32_fp8_fp8 v[12:15], a[156:157], a[60:61], v[12:15]// 00000000DD78: D3F3000C 1C32799C
	buffer_load_dword v64, v37, s[28:31], 0 offen              // 00000000DD80: E0501000 80074025
	v_mfma_f32_16x16x32_fp8_fp8 v[12:15], a[158:159], a[62:63], v[12:15]// 00000000DD88: D3F3000C 1C327D9E
	v_fma_f32 v116, v8, v6, v116                               // 00000000DD90: D1CB0074 05D20D08
	v_fma_f32 v117, v9, v6, v117                               // 00000000DD98: D1CB0075 05D60D09
	v_fma_f32 v118, v10, v6, v118                              // 00000000DDA0: D1CB0076 05DA0D0A
	v_fma_f32 v119, v11, v6, v119                              // 00000000DDA8: D1CB0077 05DE0D0B
	v_mul_f32_dpp v4, v24, v47 row_newbcast:0 row_mask:0xf bank_mask:0xf// 00000000DDB0: 0A085EFA FF015018
	v_mfma_f32_16x16x32_fp8_fp8 v[8:11], a[144:145], a[64:65], 0// 00000000DDB8: D3F30008 1A028190
	buffer_load_dword v65, v38, s[28:31], 0 offen              // 00000000DDC0: E0501000 80074126
	v_mfma_f32_16x16x32_fp8_fp8 v[8:11], a[146:147], a[66:67], v[8:11]// 00000000DDC8: D3F30008 1C228592
	v_mfma_f32_16x16x32_fp8_fp8 v[8:11], a[148:149], a[68:69], v[8:11]// 00000000DDD0: D3F30008 1C228994
	v_mfma_f32_16x16x32_fp8_fp8 v[8:11], a[150:151], a[70:71], v[8:11]// 00000000DDD8: D3F30008 1C228D96
	v_fma_f32 v152, v12, v6, v152                              // 00000000DDE0: D1CB0098 06620D0C
	v_fma_f32 v153, v13, v6, v153                              // 00000000DDE8: D1CB0099 06660D0D
	v_fma_f32 v154, v14, v6, v154                              // 00000000DDF0: D1CB009A 066A0D0E
	v_fma_f32 v155, v15, v6, v155                              // 00000000DDF8: D1CB009B 066E0D0F
	v_mfma_f32_16x16x32_fp8_fp8 v[12:15], a[152:153], a[64:65], 0// 00000000DE00: D3F3000C 1A028198
	v_mfma_f32_16x16x32_fp8_fp8 v[12:15], a[154:155], a[66:67], v[12:15]// 00000000DE08: D3F3000C 1C32859A
	v_mfma_f32_16x16x32_fp8_fp8 v[12:15], a[156:157], a[68:69], v[12:15]// 00000000DE10: D3F3000C 1C32899C
	v_mfma_f32_16x16x32_fp8_fp8 v[12:15], a[158:159], a[70:71], v[12:15]// 00000000DE18: D3F3000C 1C328D9E
	v_fma_f32 v120, v8, v4, v120                               // 00000000DE20: D1CB0078 05E20908
	v_fma_f32 v121, v9, v4, v121                               // 00000000DE28: D1CB0079 05E60909
	v_fma_f32 v122, v10, v4, v122                              // 00000000DE30: D1CB007A 05EA090A
	v_fma_f32 v123, v11, v4, v123                              // 00000000DE38: D1CB007B 05EE090B
	v_fma_f32 v156, v12, v4, v156                              // 00000000DE40: D1CB009C 0672090C
	v_fma_f32 v157, v13, v4, v157                              // 00000000DE48: D1CB009D 0676090D
	v_fma_f32 v158, v14, v4, v158                              // 00000000DE50: D1CB009E 067A090E
	v_fma_f32 v159, v15, v4, v159                              // 00000000DE58: D1CB009F 067E090F
	s_waitcnt vmcnt(32)                                        // 00000000DE60: BF8C8F70
	s_barrier                                                  // 00000000DE64: BF8A0000
	v_mul_f32_dpp v4, v27, v39 row_newbcast:0 row_mask:0xf bank_mask:0xf// 00000000DE68: 0A084EFA FF01501B
	v_mfma_f32_16x16x32_fp8_fp8 v[8:11], a[160:161], a[0:1], 0 // 00000000DE70: D3F30008 1A0201A0
	buffer_load_dword v28, v23, s[32:35], 0 offen              // 00000000DE78: E0501000 80081C17
	buffer_load_dwordx4 a[144:147], v84, s[84:87], 0 offen     // 00000000DE80: E05C1000 80959054
	v_mfma_f32_16x16x32_fp8_fp8 v[8:11], a[162:163], a[2:3], v[8:11]// 00000000DE88: D3F30008 1C2205A2
	v_mfma_f32_16x16x32_fp8_fp8 v[8:11], a[164:165], a[4:5], v[8:11]// 00000000DE90: D3F30008 1C2209A4
	ds_read_b128 a[72:75], v2 offset:18560                     // 00000000DE98: DBFE4880 48000002
	ds_read_b128 a[76:79], v2 offset:18624                     // 00000000DEA0: DBFE48C0 4C000002
	v_mfma_f32_16x16x32_fp8_fp8 v[8:11], a[166:167], a[6:7], v[8:11]// 00000000DEA8: D3F30008 1C220DA6
	v_mfma_f32_16x16x32_fp8_fp8 v[12:15], a[168:169], a[0:1], 0// 00000000DEB0: D3F3000C 1A0201A8
	buffer_load_dwordx4 a[148:151], v84, s[84:87], 0 offen offset:1024// 00000000DEB8: E05C1400 80959454
	v_mfma_f32_16x16x32_fp8_fp8 v[12:15], a[170:171], a[2:3], v[12:15]// 00000000DEC0: D3F3000C 1C3205AA
	v_mfma_f32_16x16x32_fp8_fp8 v[12:15], a[172:173], a[4:5], v[12:15]// 00000000DEC8: D3F3000C 1C3209AC
	ds_read_b128 a[80:83], v2 offset:19072                     // 00000000DED0: DBFE4A80 50000002
	ds_read_b128 a[84:87], v2 offset:19136                     // 00000000DED8: DBFE4AC0 54000002
	v_mfma_f32_16x16x32_fp8_fp8 v[12:15], a[174:175], a[6:7], v[12:15]// 00000000DEE0: D3F3000C 1C320DAE
	v_fma_f32 v160, v8, v4, v160                               // 00000000DEE8: D1CB00A0 06820908
	v_fma_f32 v161, v9, v4, v161                               // 00000000DEF0: D1CB00A1 06860909
	v_fma_f32 v162, v10, v4, v162                              // 00000000DEF8: D1CB00A2 068A090A
	v_fma_f32 v163, v11, v4, v163                              // 00000000DF00: D1CB00A3 068E090B
	v_mul_f32_dpp v6, v27, v40 row_newbcast:0 row_mask:0xf bank_mask:0xf// 00000000DF08: 0A0C50FA FF01501B
	v_mfma_f32_16x16x32_fp8_fp8 v[8:11], a[160:161], a[8:9], 0 // 00000000DF10: D3F30008 1A0211A0
	buffer_load_dwordx4 a[152:155], v85, s[84:87], 0 offen     // 00000000DF18: E05C1000 80959855
	v_mfma_f32_16x16x32_fp8_fp8 v[8:11], a[162:163], a[10:11], v[8:11]// 00000000DF20: D3F30008 1C2215A2
	v_mfma_f32_16x16x32_fp8_fp8 v[8:11], a[164:165], a[12:13], v[8:11]// 00000000DF28: D3F30008 1C2219A4
	ds_read_b128 a[88:91], v2 offset:19584                     // 00000000DF30: DBFE4C80 58000002
	ds_read_b128 a[92:95], v2 offset:19648                     // 00000000DF38: DBFE4CC0 5C000002
	v_mfma_f32_16x16x32_fp8_fp8 v[8:11], a[166:167], a[14:15], v[8:11]// 00000000DF40: D3F30008 1C221DA6
	v_fma_f32 v196, v12, v4, v196                              // 00000000DF48: D1CB00C4 0712090C
	v_fma_f32 v197, v13, v4, v197                              // 00000000DF50: D1CB00C5 0716090D
	v_fma_f32 v198, v14, v4, v198                              // 00000000DF58: D1CB00C6 071A090E
	v_fma_f32 v199, v15, v4, v199                              // 00000000DF60: D1CB00C7 071E090F
	v_mfma_f32_16x16x32_fp8_fp8 v[12:15], a[168:169], a[8:9], 0// 00000000DF68: D3F3000C 1A0211A8
	buffer_load_dwordx4 a[156:159], v85, s[84:87], 0 offen offset:1024// 00000000DF70: E05C1400 80959C55
	v_mfma_f32_16x16x32_fp8_fp8 v[12:15], a[170:171], a[10:11], v[12:15]// 00000000DF78: D3F3000C 1C3215AA
	v_mfma_f32_16x16x32_fp8_fp8 v[12:15], a[172:173], a[12:13], v[12:15]// 00000000DF80: D3F3000C 1C3219AC
	ds_read_b128 a[96:99], v2 offset:20096                     // 00000000DF88: DBFE4E80 60000002
	ds_read_b128 a[100:103], v2 offset:20160                   // 00000000DF90: DBFE4EC0 64000002
	v_mfma_f32_16x16x32_fp8_fp8 v[12:15], a[174:175], a[14:15], v[12:15]// 00000000DF98: D3F3000C 1C321DAE
	v_fma_f32 v164, v8, v6, v164                               // 00000000DFA0: D1CB00A4 06920D08
	v_fma_f32 v165, v9, v6, v165                               // 00000000DFA8: D1CB00A5 06960D09
	v_fma_f32 v166, v10, v6, v166                              // 00000000DFB0: D1CB00A6 069A0D0A
	v_fma_f32 v167, v11, v6, v167                              // 00000000DFB8: D1CB00A7 069E0D0B
	v_mul_f32_dpp v4, v27, v41 row_newbcast:0 row_mask:0xf bank_mask:0xf// 00000000DFC0: 0A0852FA FF01501B
	v_mfma_f32_16x16x32_fp8_fp8 v[8:11], a[160:161], a[16:17], 0// 00000000DFC8: D3F30008 1A0221A0
	v_mfma_f32_16x16x32_fp8_fp8 v[8:11], a[162:163], a[18:19], v[8:11]// 00000000DFD0: D3F30008 1C2225A2
	v_mfma_f32_16x16x32_fp8_fp8 v[8:11], a[164:165], a[20:21], v[8:11]// 00000000DFD8: D3F30008 1C2229A4
	ds_read_b128 a[104:107], v2 offset:20608                   // 00000000DFE0: DBFE5080 68000002
	ds_read_b128 a[108:111], v2 offset:20672                   // 00000000DFE8: DBFE50C0 6C000002
	v_mfma_f32_16x16x32_fp8_fp8 v[8:11], a[166:167], a[22:23], v[8:11]// 00000000DFF0: D3F30008 1C222DA6
	v_fma_f32 v200, v12, v6, v200                              // 00000000DFF8: D1CB00C8 07220D0C
	v_fma_f32 v201, v13, v6, v201                              // 00000000E000: D1CB00C9 07260D0D
	v_fma_f32 v202, v14, v6, v202                              // 00000000E008: D1CB00CA 072A0D0E
	v_fma_f32 v203, v15, v6, v203                              // 00000000E010: D1CB00CB 072E0D0F
	v_mfma_f32_16x16x32_fp8_fp8 v[12:15], a[168:169], a[16:17], 0// 00000000E018: D3F3000C 1A0221A8
	v_mfma_f32_16x16x32_fp8_fp8 v[12:15], a[170:171], a[18:19], v[12:15]// 00000000E020: D3F3000C 1C3225AA
	v_mfma_f32_16x16x32_fp8_fp8 v[12:15], a[172:173], a[20:21], v[12:15]// 00000000E028: D3F3000C 1C3229AC
	ds_read_b128 a[112:115], v2 offset:21120                   // 00000000E030: DBFE5280 70000002
	ds_read_b128 a[116:119], v2 offset:21184                   // 00000000E038: DBFE52C0 74000002
	v_mfma_f32_16x16x32_fp8_fp8 v[12:15], a[174:175], a[22:23], v[12:15]// 00000000E040: D3F3000C 1C322DAE
	v_fma_f32 v168, v8, v4, v168                               // 00000000E048: D1CB00A8 06A20908
	v_fma_f32 v169, v9, v4, v169                               // 00000000E050: D1CB00A9 06A60909
	v_fma_f32 v170, v10, v4, v170                              // 00000000E058: D1CB00AA 06AA090A
	v_fma_f32 v171, v11, v4, v171                              // 00000000E060: D1CB00AB 06AE090B
	v_mul_f32_dpp v6, v27, v42 row_newbcast:0 row_mask:0xf bank_mask:0xf// 00000000E068: 0A0C54FA FF01501B
	v_mfma_f32_16x16x32_fp8_fp8 v[8:11], a[160:161], a[24:25], 0// 00000000E070: D3F30008 1A0231A0
	v_mfma_f32_16x16x32_fp8_fp8 v[8:11], a[162:163], a[26:27], v[8:11]// 00000000E078: D3F30008 1C2235A2
	v_mfma_f32_16x16x32_fp8_fp8 v[8:11], a[164:165], a[28:29], v[8:11]// 00000000E080: D3F30008 1C2239A4
	ds_read_b128 a[120:123], v2 offset:21632                   // 00000000E088: DBFE5480 78000002
	ds_read_b128 a[124:127], v2 offset:21696                   // 00000000E090: DBFE54C0 7C000002
	v_mfma_f32_16x16x32_fp8_fp8 v[8:11], a[166:167], a[30:31], v[8:11]// 00000000E098: D3F30008 1C223DA6
	v_fma_f32 v204, v12, v4, v204                              // 00000000E0A0: D1CB00CC 0732090C
	v_fma_f32 v205, v13, v4, v205                              // 00000000E0A8: D1CB00CD 0736090D
	v_fma_f32 v206, v14, v4, v206                              // 00000000E0B0: D1CB00CE 073A090E
	v_fma_f32 v207, v15, v4, v207                              // 00000000E0B8: D1CB00CF 073E090F
	v_mfma_f32_16x16x32_fp8_fp8 v[12:15], a[168:169], a[24:25], 0// 00000000E0C0: D3F3000C 1A0231A8
	v_mfma_f32_16x16x32_fp8_fp8 v[12:15], a[170:171], a[26:27], v[12:15]// 00000000E0C8: D3F3000C 1C3235AA
	v_mfma_f32_16x16x32_fp8_fp8 v[12:15], a[172:173], a[28:29], v[12:15]// 00000000E0D0: D3F3000C 1C3239AC
	ds_read_b128 a[128:131], v2 offset:22144                   // 00000000E0D8: DBFE5680 80000002
	ds_read_b128 a[132:135], v2 offset:22208                   // 00000000E0E0: DBFE56C0 84000002
	v_mfma_f32_16x16x32_fp8_fp8 v[12:15], a[174:175], a[30:31], v[12:15]// 00000000E0E8: D3F3000C 1C323DAE
	v_fma_f32 v172, v8, v6, v172                               // 00000000E0F0: D1CB00AC 06B20D08
	v_fma_f32 v173, v9, v6, v173                               // 00000000E0F8: D1CB00AD 06B60D09
	v_fma_f32 v174, v10, v6, v174                              // 00000000E100: D1CB00AE 06BA0D0A
	v_fma_f32 v175, v11, v6, v175                              // 00000000E108: D1CB00AF 06BE0D0B
	v_mul_f32_dpp v4, v27, v43 row_newbcast:0 row_mask:0xf bank_mask:0xf// 00000000E110: 0A0856FA FF01501B
	v_mfma_f32_16x16x32_fp8_fp8 v[8:11], a[160:161], a[32:33], 0// 00000000E118: D3F30008 1A0241A0
	v_mfma_f32_16x16x32_fp8_fp8 v[8:11], a[162:163], a[34:35], v[8:11]// 00000000E120: D3F30008 1C2245A2
	v_mfma_f32_16x16x32_fp8_fp8 v[8:11], a[164:165], a[36:37], v[8:11]// 00000000E128: D3F30008 1C2249A4
	ds_read_b128 a[136:139], v2 offset:22656                   // 00000000E130: DBFE5880 88000002
	ds_read_b128 a[140:143], v2 offset:22720                   // 00000000E138: DBFE58C0 8C000002
	v_mfma_f32_16x16x32_fp8_fp8 v[8:11], a[166:167], a[38:39], v[8:11]// 00000000E140: D3F30008 1C224DA6
	v_fma_f32 v208, v12, v6, v208                              // 00000000E148: D1CB00D0 07420D0C
	v_fma_f32 v209, v13, v6, v209                              // 00000000E150: D1CB00D1 07460D0D
	v_fma_f32 v210, v14, v6, v210                              // 00000000E158: D1CB00D2 074A0D0E
	v_fma_f32 v211, v15, v6, v211                              // 00000000E160: D1CB00D3 074E0D0F
	v_mfma_f32_16x16x32_fp8_fp8 v[12:15], a[168:169], a[32:33], 0// 00000000E168: D3F3000C 1A0241A8
	v_mfma_f32_16x16x32_fp8_fp8 v[12:15], a[170:171], a[34:35], v[12:15]// 00000000E170: D3F3000C 1C3245AA
	v_mfma_f32_16x16x32_fp8_fp8 v[12:15], a[172:173], a[36:37], v[12:15]// 00000000E178: D3F3000C 1C3249AC
	v_mfma_f32_16x16x32_fp8_fp8 v[12:15], a[174:175], a[38:39], v[12:15]// 00000000E180: D3F3000C 1C324DAE
	v_fma_f32 v176, v8, v4, v176                               // 00000000E188: D1CB00B0 06C20908
	v_fma_f32 v177, v9, v4, v177                               // 00000000E190: D1CB00B1 06C60909
	v_fma_f32 v178, v10, v4, v178                              // 00000000E198: D1CB00B2 06CA090A
	v_fma_f32 v179, v11, v4, v179                              // 00000000E1A0: D1CB00B3 06CE090B
	v_mul_f32_dpp v6, v27, v44 row_newbcast:0 row_mask:0xf bank_mask:0xf// 00000000E1A8: 0A0C58FA FF01501B
	v_mfma_f32_16x16x32_fp8_fp8 v[8:11], a[160:161], a[40:41], 0// 00000000E1B0: D3F30008 1A0251A0
	v_mfma_f32_16x16x32_fp8_fp8 v[8:11], a[162:163], a[42:43], v[8:11]// 00000000E1B8: D3F30008 1C2255A2
	v_mfma_f32_16x16x32_fp8_fp8 v[8:11], a[164:165], a[44:45], v[8:11]// 00000000E1C0: D3F30008 1C2259A4
	v_mfma_f32_16x16x32_fp8_fp8 v[8:11], a[166:167], a[46:47], v[8:11]// 00000000E1C8: D3F30008 1C225DA6
	v_fma_f32 v212, v12, v4, v212                              // 00000000E1D0: D1CB00D4 0752090C
	v_fma_f32 v213, v13, v4, v213                              // 00000000E1D8: D1CB00D5 0756090D
	v_fma_f32 v214, v14, v4, v214                              // 00000000E1E0: D1CB00D6 075A090E
	v_fma_f32 v215, v15, v4, v215                              // 00000000E1E8: D1CB00D7 075E090F
	v_mfma_f32_16x16x32_fp8_fp8 v[12:15], a[168:169], a[40:41], 0// 00000000E1F0: D3F3000C 1A0251A8
	v_mfma_f32_16x16x32_fp8_fp8 v[12:15], a[170:171], a[42:43], v[12:15]// 00000000E1F8: D3F3000C 1C3255AA
	v_mfma_f32_16x16x32_fp8_fp8 v[12:15], a[172:173], a[44:45], v[12:15]// 00000000E200: D3F3000C 1C3259AC
	v_mfma_f32_16x16x32_fp8_fp8 v[12:15], a[174:175], a[46:47], v[12:15]// 00000000E208: D3F3000C 1C325DAE
	v_fma_f32 v180, v8, v6, v180                               // 00000000E210: D1CB00B4 06D20D08
	v_fma_f32 v181, v9, v6, v181                               // 00000000E218: D1CB00B5 06D60D09
	v_fma_f32 v182, v10, v6, v182                              // 00000000E220: D1CB00B6 06DA0D0A
	v_fma_f32 v183, v11, v6, v183                              // 00000000E228: D1CB00B7 06DE0D0B
	v_mul_f32_dpp v4, v27, v45 row_newbcast:0 row_mask:0xf bank_mask:0xf// 00000000E230: 0A085AFA FF01501B
	v_mfma_f32_16x16x32_fp8_fp8 v[8:11], a[160:161], a[48:49], 0// 00000000E238: D3F30008 1A0261A0
	v_mfma_f32_16x16x32_fp8_fp8 v[8:11], a[162:163], a[50:51], v[8:11]// 00000000E240: D3F30008 1C2265A2
	v_mfma_f32_16x16x32_fp8_fp8 v[8:11], a[164:165], a[52:53], v[8:11]// 00000000E248: D3F30008 1C2269A4
	v_mfma_f32_16x16x32_fp8_fp8 v[8:11], a[166:167], a[54:55], v[8:11]// 00000000E250: D3F30008 1C226DA6
	v_fma_f32 v216, v12, v6, v216                              // 00000000E258: D1CB00D8 07620D0C
	v_fma_f32 v217, v13, v6, v217                              // 00000000E260: D1CB00D9 07660D0D
	v_fma_f32 v218, v14, v6, v218                              // 00000000E268: D1CB00DA 076A0D0E
	v_fma_f32 v219, v15, v6, v219                              // 00000000E270: D1CB00DB 076E0D0F
	v_mfma_f32_16x16x32_fp8_fp8 v[12:15], a[168:169], a[48:49], 0// 00000000E278: D3F3000C 1A0261A8
	v_mfma_f32_16x16x32_fp8_fp8 v[12:15], a[170:171], a[50:51], v[12:15]// 00000000E280: D3F3000C 1C3265AA
	v_mfma_f32_16x16x32_fp8_fp8 v[12:15], a[172:173], a[52:53], v[12:15]// 00000000E288: D3F3000C 1C3269AC
	v_mfma_f32_16x16x32_fp8_fp8 v[12:15], a[174:175], a[54:55], v[12:15]// 00000000E290: D3F3000C 1C326DAE
	v_fma_f32 v184, v8, v4, v184                               // 00000000E298: D1CB00B8 06E20908
	v_fma_f32 v185, v9, v4, v185                               // 00000000E2A0: D1CB00B9 06E60909
	v_fma_f32 v186, v10, v4, v186                              // 00000000E2A8: D1CB00BA 06EA090A
	v_fma_f32 v187, v11, v4, v187                              // 00000000E2B0: D1CB00BB 06EE090B
	v_mul_f32_dpp v6, v27, v46 row_newbcast:0 row_mask:0xf bank_mask:0xf// 00000000E2B8: 0A0C5CFA FF01501B
	v_mfma_f32_16x16x32_fp8_fp8 v[8:11], a[160:161], a[56:57], 0// 00000000E2C0: D3F30008 1A0271A0
	v_mfma_f32_16x16x32_fp8_fp8 v[8:11], a[162:163], a[58:59], v[8:11]// 00000000E2C8: D3F30008 1C2275A2
	v_mfma_f32_16x16x32_fp8_fp8 v[8:11], a[164:165], a[60:61], v[8:11]// 00000000E2D0: D3F30008 1C2279A4
	v_mfma_f32_16x16x32_fp8_fp8 v[8:11], a[166:167], a[62:63], v[8:11]// 00000000E2D8: D3F30008 1C227DA6
	v_fma_f32 v220, v12, v4, v220                              // 00000000E2E0: D1CB00DC 0772090C
	v_fma_f32 v221, v13, v4, v221                              // 00000000E2E8: D1CB00DD 0776090D
	v_fma_f32 v222, v14, v4, v222                              // 00000000E2F0: D1CB00DE 077A090E
	v_fma_f32 v223, v15, v4, v223                              // 00000000E2F8: D1CB00DF 077E090F
	v_mfma_f32_16x16x32_fp8_fp8 v[12:15], a[168:169], a[56:57], 0// 00000000E300: D3F3000C 1A0271A8
	v_mfma_f32_16x16x32_fp8_fp8 v[12:15], a[170:171], a[58:59], v[12:15]// 00000000E308: D3F3000C 1C3275AA
	v_mfma_f32_16x16x32_fp8_fp8 v[12:15], a[172:173], a[60:61], v[12:15]// 00000000E310: D3F3000C 1C3279AC
	v_mfma_f32_16x16x32_fp8_fp8 v[12:15], a[174:175], a[62:63], v[12:15]// 00000000E318: D3F3000C 1C327DAE
	v_fma_f32 v188, v8, v6, v188                               // 00000000E320: D1CB00BC 06F20D08
	v_fma_f32 v189, v9, v6, v189                               // 00000000E328: D1CB00BD 06F60D09
	v_fma_f32 v190, v10, v6, v190                              // 00000000E330: D1CB00BE 06FA0D0A
	v_fma_f32 v191, v11, v6, v191                              // 00000000E338: D1CB00BF 06FE0D0B
	v_mul_f32_dpp v4, v27, v47 row_newbcast:0 row_mask:0xf bank_mask:0xf// 00000000E340: 0A085EFA FF01501B
	v_mfma_f32_16x16x32_fp8_fp8 v[8:11], a[160:161], a[64:65], 0// 00000000E348: D3F30008 1A0281A0
	s_add_u32 s60, 0x180, s80                                  // 00000000E350: 803C50FF 00000180
	s_cmp_lt_u32 s60, s81                                      // 00000000E358: BF0A513C
	s_cselect_b32 s57, s57, 0                                  // 00000000E35C: 85398039
	s_cselect_b32 s3, s3, 0                                    // 00000000E360: 85038003
	v_mfma_f32_16x16x32_fp8_fp8 v[8:11], a[162:163], a[66:67], v[8:11]// 00000000E364: D3F30008 1C2285A2
	s_add_u32 s60, 0x100, s80                                  // 00000000E36C: 803C50FF 00000100
	s_cmp_lt_u32 s60, s81                                      // 00000000E374: BF0A513C
	s_cselect_b32 s58, s58, 0                                  // 00000000E378: 853A803A
	v_mfma_f32_16x16x32_fp8_fp8 v[8:11], a[164:165], a[68:69], v[8:11]// 00000000E37C: D3F30008 1C2289A4
	s_add_u32 s60, 0x100, s80                                  // 00000000E384: 803C50FF 00000100
	s_cmp_lt_u32 s60, s81                                      // 00000000E38C: BF0A513C
	s_cselect_b32 s83, s83, 0                                  // 00000000E390: 85538053
	s_cselect_b32 s4, s4, 0                                    // 00000000E394: 85048004
	v_mfma_f32_16x16x32_fp8_fp8 v[8:11], a[166:167], a[70:71], v[8:11]// 00000000E398: D3F30008 1C228DA6
	s_add_u32 s24, s58, s24                                    // 00000000E3A0: 8018183A
	s_addc_u32 s25, 0, s25                                     // 00000000E3A4: 82191980
	v_fma_f32 v224, v12, v6, v224                              // 00000000E3A8: D1CB00E0 07820D0C
	v_fma_f32 v225, v13, v6, v225                              // 00000000E3B0: D1CB00E1 07860D0D
	v_fma_f32 v226, v14, v6, v226                              // 00000000E3B8: D1CB00E2 078A0D0E
	v_fma_f32 v227, v15, v6, v227                              // 00000000E3C0: D1CB00E3 078E0D0F
	v_mfma_f32_16x16x32_fp8_fp8 v[12:15], a[168:169], a[64:65], 0// 00000000E3C8: D3F3000C 1A0281A8
	s_add_u32 s20, s57, s20                                    // 00000000E3D0: 80141439
	s_addc_u32 s21, 0, s21                                     // 00000000E3D4: 82151580
	s_add_u32 s28, s3, s28                                     // 00000000E3D8: 801C1C03
	s_addc_u32 s29, 0, s29                                     // 00000000E3DC: 821D1D80
	v_mfma_f32_16x16x32_fp8_fp8 v[12:15], a[170:171], a[66:67], v[12:15]// 00000000E3E0: D3F3000C 1C3285AA
	s_add_u32 s84, s83, s84                                    // 00000000E3E8: 80545453
	s_addc_u32 s85, 0, s85                                     // 00000000E3EC: 82555580
	v_mfma_f32_16x16x32_fp8_fp8 v[12:15], a[172:173], a[68:69], v[12:15]// 00000000E3F0: D3F3000C 1C3289AC
	s_add_u32 s32, s4, s32                                     // 00000000E3F8: 80202004
	s_addc_u32 s33, 0, s33                                     // 00000000E3FC: 82212180
	v_mfma_f32_16x16x32_fp8_fp8 v[12:15], a[174:175], a[70:71], v[12:15]// 00000000E400: D3F3000C 1C328DAE
	v_fma_f32 v192, v8, v4, v192                               // 00000000E408: D1CB00C0 07020908
	v_fma_f32 v193, v9, v4, v193                               // 00000000E410: D1CB00C1 07060909
	v_fma_f32 v194, v10, v4, v194                              // 00000000E418: D1CB00C2 070A090A
	v_fma_f32 v195, v11, v4, v195                              // 00000000E420: D1CB00C3 070E090B
	v_fma_f32 v228, v12, v4, v228                              // 00000000E428: D1CB00E4 0792090C
	v_fma_f32 v229, v13, v4, v229                              // 00000000E430: D1CB00E5 0796090D
	v_fma_f32 v230, v14, v4, v230                              // 00000000E438: D1CB00E6 079A090E
	v_fma_f32 v231, v15, v4, v231                              // 00000000E440: D1CB00E7 079E090F
	s_addk_i32 s80, 0x80                                       // 00000000E448: B7500080
	s_cmp_lt_i32 s80, s81                                      // 00000000E44C: BF045150
	s_cbranch_scc0 label_3DF8                                  // 00000000E450: BF840F60
	s_waitcnt vmcnt(32) lgkmcnt(0)                             // 00000000E454: BF8C8070
	v_mul_f32_dpp v4, v25, v48 row_newbcast:0 row_mask:0xf bank_mask:0xf// 00000000E458: 0A0860FA FF015019
	v_mfma_f32_16x16x32_fp8_fp8 v[8:11], a[176:177], a[72:73], 0// 00000000E460: D3F30008 1A0291B0
	buffer_load_dword v26, v22, s[32:35], 0 offen              // 00000000E468: E0501000 80081A16
	buffer_load_dwordx4 a[160:163], v84, s[24:27], 0 offen     // 00000000E470: E05C1000 8086A054
	v_mfma_f32_16x16x32_fp8_fp8 v[8:11], a[178:179], a[74:75], v[8:11]// 00000000E478: D3F30008 1C2295B2
	v_mfma_f32_16x16x32_fp8_fp8 v[8:11], a[180:181], a[76:77], v[8:11]// 00000000E480: D3F30008 1C2299B4
	v_mfma_f32_16x16x32_fp8_fp8 v[8:11], a[182:183], a[78:79], v[8:11]// 00000000E488: D3F30008 1C229DB6
	v_mfma_f32_16x16x32_fp8_fp8 v[12:15], a[184:185], a[72:73], 0// 00000000E490: D3F3000C 1A0291B8
	buffer_load_dwordx4 a[164:167], v84, s[24:27], 0 offen offset:1024// 00000000E498: E05C1400 8086A454
	v_mfma_f32_16x16x32_fp8_fp8 v[12:15], a[186:187], a[74:75], v[12:15]// 00000000E4A0: D3F3000C 1C3295BA
	v_mfma_f32_16x16x32_fp8_fp8 v[12:15], a[188:189], a[76:77], v[12:15]// 00000000E4A8: D3F3000C 1C3299BC
	v_mfma_f32_16x16x32_fp8_fp8 v[12:15], a[190:191], a[78:79], v[12:15]// 00000000E4B0: D3F3000C 1C329DBE
	v_fma_f32 v88, v8, v4, v88                                 // 00000000E4B8: D1CB0058 05620908
	v_fma_f32 v89, v9, v4, v89                                 // 00000000E4C0: D1CB0059 05660909
	v_fma_f32 v90, v10, v4, v90                                // 00000000E4C8: D1CB005A 056A090A
	v_fma_f32 v91, v11, v4, v91                                // 00000000E4D0: D1CB005B 056E090B
	v_mul_f32_dpp v6, v25, v49 row_newbcast:0 row_mask:0xf bank_mask:0xf// 00000000E4D8: 0A0C62FA FF015019
	v_mfma_f32_16x16x32_fp8_fp8 v[8:11], a[176:177], a[80:81], 0// 00000000E4E0: D3F30008 1A02A1B0
	buffer_load_dwordx4 a[168:171], v85, s[24:27], 0 offen     // 00000000E4E8: E05C1000 8086A855
	v_mfma_f32_16x16x32_fp8_fp8 v[8:11], a[178:179], a[82:83], v[8:11]// 00000000E4F0: D3F30008 1C22A5B2
	v_mfma_f32_16x16x32_fp8_fp8 v[8:11], a[180:181], a[84:85], v[8:11]// 00000000E4F8: D3F30008 1C22A9B4
	v_mfma_f32_16x16x32_fp8_fp8 v[8:11], a[182:183], a[86:87], v[8:11]// 00000000E500: D3F30008 1C22ADB6
	v_fma_f32 v124, v12, v4, v124                              // 00000000E508: D1CB007C 05F2090C
	v_fma_f32 v125, v13, v4, v125                              // 00000000E510: D1CB007D 05F6090D
	v_fma_f32 v126, v14, v4, v126                              // 00000000E518: D1CB007E 05FA090E
	v_fma_f32 v127, v15, v4, v127                              // 00000000E520: D1CB007F 05FE090F
	v_mfma_f32_16x16x32_fp8_fp8 v[12:15], a[184:185], a[80:81], 0// 00000000E528: D3F3000C 1A02A1B8
	buffer_load_dwordx4 a[172:175], v85, s[24:27], 0 offen offset:1024// 00000000E530: E05C1400 8086AC55
	buffer_load_dword v66, s[20:23], 0 offen lds               // 00000000E538: E0511000 80050042
	s_add_u32 m0, 0x100, s48                                   // 00000000E540: 807C30FF 00000100
	v_mfma_f32_16x16x32_fp8_fp8 v[12:15], a[186:187], a[82:83], v[12:15]// 00000000E548: D3F3000C 1C32A5BA
	v_mfma_f32_16x16x32_fp8_fp8 v[12:15], a[188:189], a[84:85], v[12:15]// 00000000E550: D3F3000C 1C32A9BC
	buffer_load_dword v67, s[20:23], 0 offen lds               // 00000000E558: E0511000 80050043
	s_add_u32 m0, 0x200, s48                                   // 00000000E560: 807C30FF 00000200
	v_mfma_f32_16x16x32_fp8_fp8 v[12:15], a[190:191], a[86:87], v[12:15]// 00000000E568: D3F3000C 1C32ADBE
	v_fma_f32 v92, v8, v6, v92                                 // 00000000E570: D1CB005C 05720D08
	v_fma_f32 v93, v9, v6, v93                                 // 00000000E578: D1CB005D 05760D09
	v_fma_f32 v94, v10, v6, v94                                // 00000000E580: D1CB005E 057A0D0A
	v_fma_f32 v95, v11, v6, v95                                // 00000000E588: D1CB005F 057E0D0B
	v_mul_f32_dpp v4, v25, v50 row_newbcast:0 row_mask:0xf bank_mask:0xf// 00000000E590: 0A0864FA FF015019
	v_mfma_f32_16x16x32_fp8_fp8 v[8:11], a[176:177], a[88:89], 0// 00000000E598: D3F30008 1A02B1B0
	buffer_load_dword v68, s[20:23], 0 offen lds               // 00000000E5A0: E0511000 80050044
	s_add_u32 m0, 0x300, s48                                   // 00000000E5A8: 807C30FF 00000300
	v_mfma_f32_16x16x32_fp8_fp8 v[8:11], a[178:179], a[90:91], v[8:11]// 00000000E5B0: D3F30008 1C22B5B2
	v_mfma_f32_16x16x32_fp8_fp8 v[8:11], a[180:181], a[92:93], v[8:11]// 00000000E5B8: D3F30008 1C22B9B4
	buffer_load_dword v69, s[20:23], 0 offen lds               // 00000000E5C0: E0511000 80050045
	s_add_u32 m0, 0x400, s48                                   // 00000000E5C8: 807C30FF 00000400
	v_mfma_f32_16x16x32_fp8_fp8 v[8:11], a[182:183], a[94:95], v[8:11]// 00000000E5D0: D3F30008 1C22BDB6
	v_fma_f32 v128, v12, v6, v128                              // 00000000E5D8: D1CB0080 06020D0C
	v_fma_f32 v129, v13, v6, v129                              // 00000000E5E0: D1CB0081 06060D0D
	v_fma_f32 v130, v14, v6, v130                              // 00000000E5E8: D1CB0082 060A0D0E
	v_fma_f32 v131, v15, v6, v131                              // 00000000E5F0: D1CB0083 060E0D0F
	v_mfma_f32_16x16x32_fp8_fp8 v[12:15], a[184:185], a[88:89], 0// 00000000E5F8: D3F3000C 1A02B1B8
	buffer_load_dword v70, s[20:23], 0 offen lds               // 00000000E600: E0511000 80050046
	s_add_u32 m0, 0x500, s48                                   // 00000000E608: 807C30FF 00000500
	v_mfma_f32_16x16x32_fp8_fp8 v[12:15], a[186:187], a[90:91], v[12:15]// 00000000E610: D3F3000C 1C32B5BA
	v_mfma_f32_16x16x32_fp8_fp8 v[12:15], a[188:189], a[92:93], v[12:15]// 00000000E618: D3F3000C 1C32B9BC
	buffer_load_dword v71, s[20:23], 0 offen lds               // 00000000E620: E0511000 80050047
	s_add_u32 m0, 0x600, s48                                   // 00000000E628: 807C30FF 00000600
	v_mfma_f32_16x16x32_fp8_fp8 v[12:15], a[190:191], a[94:95], v[12:15]// 00000000E630: D3F3000C 1C32BDBE
	v_fma_f32 v96, v8, v4, v96                                 // 00000000E638: D1CB0060 05820908
	v_fma_f32 v97, v9, v4, v97                                 // 00000000E640: D1CB0061 05860909
	v_fma_f32 v98, v10, v4, v98                                // 00000000E648: D1CB0062 058A090A
	v_fma_f32 v99, v11, v4, v99                                // 00000000E650: D1CB0063 058E090B
	v_mul_f32_dpp v6, v25, v51 row_newbcast:0 row_mask:0xf bank_mask:0xf// 00000000E658: 0A0C66FA FF015019
	v_mfma_f32_16x16x32_fp8_fp8 v[8:11], a[176:177], a[96:97], 0// 00000000E660: D3F30008 1A02C1B0
	buffer_load_dword v72, s[20:23], 0 offen lds               // 00000000E668: E0511000 80050048
	s_add_u32 m0, 0x700, s48                                   // 00000000E670: 807C30FF 00000700
	v_mfma_f32_16x16x32_fp8_fp8 v[8:11], a[178:179], a[98:99], v[8:11]// 00000000E678: D3F30008 1C22C5B2
	v_mfma_f32_16x16x32_fp8_fp8 v[8:11], a[180:181], a[100:101], v[8:11]// 00000000E680: D3F30008 1C22C9B4
	buffer_load_dword v73, s[20:23], 0 offen lds               // 00000000E688: E0511000 80050049
	s_add_u32 m0, 0x800, s48                                   // 00000000E690: 807C30FF 00000800
	v_mfma_f32_16x16x32_fp8_fp8 v[8:11], a[182:183], a[102:103], v[8:11]// 00000000E698: D3F30008 1C22CDB6
	v_fma_f32 v132, v12, v4, v132                              // 00000000E6A0: D1CB0084 0612090C
	v_fma_f32 v133, v13, v4, v133                              // 00000000E6A8: D1CB0085 0616090D
	v_fma_f32 v134, v14, v4, v134                              // 00000000E6B0: D1CB0086 061A090E
	v_fma_f32 v135, v15, v4, v135                              // 00000000E6B8: D1CB0087 061E090F
	v_mfma_f32_16x16x32_fp8_fp8 v[12:15], a[184:185], a[96:97], 0// 00000000E6C0: D3F3000C 1A02C1B8
	buffer_load_dword v74, s[20:23], 0 offen lds               // 00000000E6C8: E0511000 8005004A
	s_add_u32 m0, 0x900, s48                                   // 00000000E6D0: 807C30FF 00000900
	v_mfma_f32_16x16x32_fp8_fp8 v[12:15], a[186:187], a[98:99], v[12:15]// 00000000E6D8: D3F3000C 1C32C5BA
	v_mfma_f32_16x16x32_fp8_fp8 v[12:15], a[188:189], a[100:101], v[12:15]// 00000000E6E0: D3F3000C 1C32C9BC
	buffer_load_dword v75, s[20:23], 0 offen lds               // 00000000E6E8: E0511000 8005004B
	s_add_u32 m0, 0xa00, s48                                   // 00000000E6F0: 807C30FF 00000A00
	v_mfma_f32_16x16x32_fp8_fp8 v[12:15], a[190:191], a[102:103], v[12:15]// 00000000E6F8: D3F3000C 1C32CDBE
	v_fma_f32 v100, v8, v6, v100                               // 00000000E700: D1CB0064 05920D08
	v_fma_f32 v101, v9, v6, v101                               // 00000000E708: D1CB0065 05960D09
	v_fma_f32 v102, v10, v6, v102                              // 00000000E710: D1CB0066 059A0D0A
	v_fma_f32 v103, v11, v6, v103                              // 00000000E718: D1CB0067 059E0D0B
	v_mul_f32_dpp v4, v25, v52 row_newbcast:0 row_mask:0xf bank_mask:0xf// 00000000E720: 0A0868FA FF015019
	v_mfma_f32_16x16x32_fp8_fp8 v[8:11], a[176:177], a[104:105], 0// 00000000E728: D3F30008 1A02D1B0
	buffer_load_dword v76, s[20:23], 0 offen lds               // 00000000E730: E0511000 8005004C
	s_add_u32 m0, 0xb00, s48                                   // 00000000E738: 807C30FF 00000B00
	v_mfma_f32_16x16x32_fp8_fp8 v[8:11], a[178:179], a[106:107], v[8:11]// 00000000E740: D3F30008 1C22D5B2
	v_mfma_f32_16x16x32_fp8_fp8 v[8:11], a[180:181], a[108:109], v[8:11]// 00000000E748: D3F30008 1C22D9B4
	buffer_load_dword v77, s[20:23], 0 offen lds               // 00000000E750: E0511000 8005004D
	s_add_u32 m0, 0xc00, s48                                   // 00000000E758: 807C30FF 00000C00
	v_mfma_f32_16x16x32_fp8_fp8 v[8:11], a[182:183], a[110:111], v[8:11]// 00000000E760: D3F30008 1C22DDB6
	v_fma_f32 v136, v12, v6, v136                              // 00000000E768: D1CB0088 06220D0C
	v_fma_f32 v137, v13, v6, v137                              // 00000000E770: D1CB0089 06260D0D
	v_fma_f32 v138, v14, v6, v138                              // 00000000E778: D1CB008A 062A0D0E
	v_fma_f32 v139, v15, v6, v139                              // 00000000E780: D1CB008B 062E0D0F
	v_mfma_f32_16x16x32_fp8_fp8 v[12:15], a[184:185], a[104:105], 0// 00000000E788: D3F3000C 1A02D1B8
	buffer_load_dword v78, s[20:23], 0 offen lds               // 00000000E790: E0511000 8005004E
	s_add_u32 m0, 0xd00, s48                                   // 00000000E798: 807C30FF 00000D00
	v_mfma_f32_16x16x32_fp8_fp8 v[12:15], a[186:187], a[106:107], v[12:15]// 00000000E7A0: D3F3000C 1C32D5BA
	v_mfma_f32_16x16x32_fp8_fp8 v[12:15], a[188:189], a[108:109], v[12:15]// 00000000E7A8: D3F3000C 1C32D9BC
	buffer_load_dword v79, s[20:23], 0 offen lds               // 00000000E7B0: E0511000 8005004F
	s_add_u32 m0, 0xe00, s48                                   // 00000000E7B8: 807C30FF 00000E00
	v_mfma_f32_16x16x32_fp8_fp8 v[12:15], a[190:191], a[110:111], v[12:15]// 00000000E7C0: D3F3000C 1C32DDBE
	v_fma_f32 v104, v8, v4, v104                               // 00000000E7C8: D1CB0068 05A20908
	v_fma_f32 v105, v9, v4, v105                               // 00000000E7D0: D1CB0069 05A60909
	v_fma_f32 v106, v10, v4, v106                              // 00000000E7D8: D1CB006A 05AA090A
	v_fma_f32 v107, v11, v4, v107                              // 00000000E7E0: D1CB006B 05AE090B
	v_mul_f32_dpp v6, v25, v53 row_newbcast:0 row_mask:0xf bank_mask:0xf// 00000000E7E8: 0A0C6AFA FF015019
	v_mfma_f32_16x16x32_fp8_fp8 v[8:11], a[176:177], a[112:113], 0// 00000000E7F0: D3F30008 1A02E1B0
	buffer_load_dword v80, s[20:23], 0 offen lds               // 00000000E7F8: E0511000 80050050
	s_add_u32 m0, 0xf00, s48                                   // 00000000E800: 807C30FF 00000F00
	v_mfma_f32_16x16x32_fp8_fp8 v[8:11], a[178:179], a[114:115], v[8:11]// 00000000E808: D3F30008 1C22E5B2
	v_mfma_f32_16x16x32_fp8_fp8 v[8:11], a[180:181], a[116:117], v[8:11]// 00000000E810: D3F30008 1C22E9B4
	buffer_load_dword v81, s[20:23], 0 offen lds               // 00000000E818: E0511000 80050051
	s_add_u32 m0, 0x1000, s48                                  // 00000000E820: 807C30FF 00001000
	v_mfma_f32_16x16x32_fp8_fp8 v[8:11], a[182:183], a[118:119], v[8:11]// 00000000E828: D3F30008 1C22EDB6
	v_fma_f32 v140, v12, v4, v140                              // 00000000E830: D1CB008C 0632090C
	v_fma_f32 v141, v13, v4, v141                              // 00000000E838: D1CB008D 0636090D
	v_fma_f32 v142, v14, v4, v142                              // 00000000E840: D1CB008E 063A090E
	v_fma_f32 v143, v15, v4, v143                              // 00000000E848: D1CB008F 063E090F
	v_mfma_f32_16x16x32_fp8_fp8 v[12:15], a[184:185], a[112:113], 0// 00000000E850: D3F3000C 1A02E1B8
	buffer_load_dword v82, s[20:23], 0 offen lds               // 00000000E858: E0511000 80050052
	s_add_u32 m0, 0x1100, s48                                  // 00000000E860: 807C30FF 00001100
	v_mfma_f32_16x16x32_fp8_fp8 v[12:15], a[186:187], a[114:115], v[12:15]// 00000000E868: D3F3000C 1C32E5BA
	v_mfma_f32_16x16x32_fp8_fp8 v[12:15], a[188:189], a[116:117], v[12:15]// 00000000E870: D3F3000C 1C32E9BC
	buffer_load_dword v83, s[20:23], 0 offen lds               // 00000000E878: E0511000 80050053
	s_add_u32 m0, 0, s49                                       // 00000000E880: 807C3180
	v_mfma_f32_16x16x32_fp8_fp8 v[12:15], a[190:191], a[118:119], v[12:15]// 00000000E884: D3F3000C 1C32EDBE
	v_fma_f32 v108, v8, v6, v108                               // 00000000E88C: D1CB006C 05B20D08
	v_fma_f32 v109, v9, v6, v109                               // 00000000E894: D1CB006D 05B60D09
	v_fma_f32 v110, v10, v6, v110                              // 00000000E89C: D1CB006E 05BA0D0A
	v_fma_f32 v111, v11, v6, v111                              // 00000000E8A4: D1CB006F 05BE0D0B
	v_mul_f32_dpp v4, v25, v54 row_newbcast:0 row_mask:0xf bank_mask:0xf// 00000000E8AC: 0A086CFA FF015019
	v_mfma_f32_16x16x32_fp8_fp8 v[8:11], a[176:177], a[120:121], 0// 00000000E8B4: D3F30008 1A02F1B0
	buffer_load_dword v39, v30, s[28:31], 0 offen              // 00000000E8BC: E0501000 8007271E
	v_mfma_f32_16x16x32_fp8_fp8 v[8:11], a[178:179], a[122:123], v[8:11]// 00000000E8C4: D3F30008 1C22F5B2
	v_mfma_f32_16x16x32_fp8_fp8 v[8:11], a[180:181], a[124:125], v[8:11]// 00000000E8CC: D3F30008 1C22F9B4
	buffer_load_dword v40, v31, s[28:31], 0 offen              // 00000000E8D4: E0501000 8007281F
	v_mfma_f32_16x16x32_fp8_fp8 v[8:11], a[182:183], a[126:127], v[8:11]// 00000000E8DC: D3F30008 1C22FDB6
	v_fma_f32 v144, v12, v6, v144                              // 00000000E8E4: D1CB0090 06420D0C
	v_fma_f32 v145, v13, v6, v145                              // 00000000E8EC: D1CB0091 06460D0D
	v_fma_f32 v146, v14, v6, v146                              // 00000000E8F4: D1CB0092 064A0D0E
	v_fma_f32 v147, v15, v6, v147                              // 00000000E8FC: D1CB0093 064E0D0F
	v_mfma_f32_16x16x32_fp8_fp8 v[12:15], a[184:185], a[120:121], 0// 00000000E904: D3F3000C 1A02F1B8
	buffer_load_dword v41, v32, s[28:31], 0 offen              // 00000000E90C: E0501000 80072920
	v_mfma_f32_16x16x32_fp8_fp8 v[12:15], a[186:187], a[122:123], v[12:15]// 00000000E914: D3F3000C 1C32F5BA
	v_mfma_f32_16x16x32_fp8_fp8 v[12:15], a[188:189], a[124:125], v[12:15]// 00000000E91C: D3F3000C 1C32F9BC
	buffer_load_dword v42, v33, s[28:31], 0 offen              // 00000000E924: E0501000 80072A21
	v_mfma_f32_16x16x32_fp8_fp8 v[12:15], a[190:191], a[126:127], v[12:15]// 00000000E92C: D3F3000C 1C32FDBE
	v_fma_f32 v112, v8, v4, v112                               // 00000000E934: D1CB0070 05C20908
	v_fma_f32 v113, v9, v4, v113                               // 00000000E93C: D1CB0071 05C60909
	v_fma_f32 v114, v10, v4, v114                              // 00000000E944: D1CB0072 05CA090A
	v_fma_f32 v115, v11, v4, v115                              // 00000000E94C: D1CB0073 05CE090B
	v_mul_f32_dpp v6, v25, v55 row_newbcast:0 row_mask:0xf bank_mask:0xf// 00000000E954: 0A0C6EFA FF015019
	v_mfma_f32_16x16x32_fp8_fp8 v[8:11], a[176:177], a[128:129], 0// 00000000E95C: D3F30008 1A0301B0
	buffer_load_dword v43, v34, s[28:31], 0 offen              // 00000000E964: E0501000 80072B22
	v_mfma_f32_16x16x32_fp8_fp8 v[8:11], a[178:179], a[130:131], v[8:11]// 00000000E96C: D3F30008 1C2305B2
	v_mfma_f32_16x16x32_fp8_fp8 v[8:11], a[180:181], a[132:133], v[8:11]// 00000000E974: D3F30008 1C2309B4
	buffer_load_dword v44, v35, s[28:31], 0 offen              // 00000000E97C: E0501000 80072C23
	v_mfma_f32_16x16x32_fp8_fp8 v[8:11], a[182:183], a[134:135], v[8:11]// 00000000E984: D3F30008 1C230DB6
	v_fma_f32 v148, v12, v4, v148                              // 00000000E98C: D1CB0094 0652090C
	v_fma_f32 v149, v13, v4, v149                              // 00000000E994: D1CB0095 0656090D
	v_fma_f32 v150, v14, v4, v150                              // 00000000E99C: D1CB0096 065A090E
	v_fma_f32 v151, v15, v4, v151                              // 00000000E9A4: D1CB0097 065E090F
	v_mfma_f32_16x16x32_fp8_fp8 v[12:15], a[184:185], a[128:129], 0// 00000000E9AC: D3F3000C 1A0301B8
	buffer_load_dword v45, v36, s[28:31], 0 offen              // 00000000E9B4: E0501000 80072D24
	v_mfma_f32_16x16x32_fp8_fp8 v[12:15], a[186:187], a[130:131], v[12:15]// 00000000E9BC: D3F3000C 1C3305BA
	v_mfma_f32_16x16x32_fp8_fp8 v[12:15], a[188:189], a[132:133], v[12:15]// 00000000E9C4: D3F3000C 1C3309BC
	buffer_load_dword v46, v37, s[28:31], 0 offen              // 00000000E9CC: E0501000 80072E25
	v_mfma_f32_16x16x32_fp8_fp8 v[12:15], a[190:191], a[134:135], v[12:15]// 00000000E9D4: D3F3000C 1C330DBE
	v_fma_f32 v116, v8, v6, v116                               // 00000000E9DC: D1CB0074 05D20D08
	v_fma_f32 v117, v9, v6, v117                               // 00000000E9E4: D1CB0075 05D60D09
	v_fma_f32 v118, v10, v6, v118                              // 00000000E9EC: D1CB0076 05DA0D0A
	v_fma_f32 v119, v11, v6, v119                              // 00000000E9F4: D1CB0077 05DE0D0B
	v_mul_f32_dpp v4, v25, v56 row_newbcast:0 row_mask:0xf bank_mask:0xf// 00000000E9FC: 0A0870FA FF015019
	v_mfma_f32_16x16x32_fp8_fp8 v[8:11], a[176:177], a[136:137], 0// 00000000EA04: D3F30008 1A0311B0
	buffer_load_dword v47, v38, s[28:31], 0 offen              // 00000000EA0C: E0501000 80072F26
	v_mfma_f32_16x16x32_fp8_fp8 v[8:11], a[178:179], a[138:139], v[8:11]// 00000000EA14: D3F30008 1C2315B2
	v_mfma_f32_16x16x32_fp8_fp8 v[8:11], a[180:181], a[140:141], v[8:11]// 00000000EA1C: D3F30008 1C2319B4
	v_mfma_f32_16x16x32_fp8_fp8 v[8:11], a[182:183], a[142:143], v[8:11]// 00000000EA24: D3F30008 1C231DB6
	v_fma_f32 v152, v12, v6, v152                              // 00000000EA2C: D1CB0098 06620D0C
	v_fma_f32 v153, v13, v6, v153                              // 00000000EA34: D1CB0099 06660D0D
	v_fma_f32 v154, v14, v6, v154                              // 00000000EA3C: D1CB009A 066A0D0E
	v_fma_f32 v155, v15, v6, v155                              // 00000000EA44: D1CB009B 066E0D0F
	v_mfma_f32_16x16x32_fp8_fp8 v[12:15], a[184:185], a[136:137], 0// 00000000EA4C: D3F3000C 1A0311B8
	v_mfma_f32_16x16x32_fp8_fp8 v[12:15], a[186:187], a[138:139], v[12:15]// 00000000EA54: D3F3000C 1C3315BA
	v_mfma_f32_16x16x32_fp8_fp8 v[12:15], a[188:189], a[140:141], v[12:15]// 00000000EA5C: D3F3000C 1C3319BC
	v_mfma_f32_16x16x32_fp8_fp8 v[12:15], a[190:191], a[142:143], v[12:15]// 00000000EA64: D3F3000C 1C331DBE
	v_fma_f32 v120, v8, v4, v120                               // 00000000EA6C: D1CB0078 05E20908
	v_fma_f32 v121, v9, v4, v121                               // 00000000EA74: D1CB0079 05E60909
	v_fma_f32 v122, v10, v4, v122                              // 00000000EA7C: D1CB007A 05EA090A
	v_fma_f32 v123, v11, v4, v123                              // 00000000EA84: D1CB007B 05EE090B
	v_fma_f32 v156, v12, v4, v156                              // 00000000EA8C: D1CB009C 0672090C
	v_fma_f32 v157, v13, v4, v157                              // 00000000EA94: D1CB009D 0676090D
	v_fma_f32 v158, v14, v4, v158                              // 00000000EA9C: D1CB009E 067A090E
	v_fma_f32 v159, v15, v4, v159                              // 00000000EAA4: D1CB009F 067E090F
	s_waitcnt vmcnt(32)                                        // 00000000EAAC: BF8C8F70
	s_barrier                                                  // 00000000EAB0: BF8A0000
	v_mul_f32_dpp v4, v28, v48 row_newbcast:0 row_mask:0xf bank_mask:0xf// 00000000EAB4: 0A0860FA FF01501C
	v_mfma_f32_16x16x32_fp8_fp8 v[8:11], a[144:145], a[72:73], 0// 00000000EABC: D3F30008 1A029190
	buffer_load_dword v29, v23, s[32:35], 0 offen              // 00000000EAC4: E0501000 80081D17
	buffer_load_dwordx4 a[176:179], v84, s[84:87], 0 offen     // 00000000EACC: E05C1000 8095B054
	v_mfma_f32_16x16x32_fp8_fp8 v[8:11], a[146:147], a[74:75], v[8:11]// 00000000EAD4: D3F30008 1C229592
	v_mfma_f32_16x16x32_fp8_fp8 v[8:11], a[148:149], a[76:77], v[8:11]// 00000000EADC: D3F30008 1C229994
	ds_read_b128 a[0:3], v2 offset:37120                       // 00000000EAE4: DBFE9100 00000002
	ds_read_b128 a[4:7], v2 offset:37184                       // 00000000EAEC: DBFE9140 04000002
	v_mfma_f32_16x16x32_fp8_fp8 v[8:11], a[150:151], a[78:79], v[8:11]// 00000000EAF4: D3F30008 1C229D96
	v_mfma_f32_16x16x32_fp8_fp8 v[12:15], a[152:153], a[72:73], 0// 00000000EAFC: D3F3000C 1A029198
	buffer_load_dwordx4 a[180:183], v84, s[84:87], 0 offen offset:1024// 00000000EB04: E05C1400 8095B454
	v_mfma_f32_16x16x32_fp8_fp8 v[12:15], a[154:155], a[74:75], v[12:15]// 00000000EB0C: D3F3000C 1C32959A
	v_mfma_f32_16x16x32_fp8_fp8 v[12:15], a[156:157], a[76:77], v[12:15]// 00000000EB14: D3F3000C 1C32999C
	ds_read_b128 a[8:11], v2 offset:37632                      // 00000000EB1C: DBFE9300 08000002
	ds_read_b128 a[12:15], v2 offset:37696                     // 00000000EB24: DBFE9340 0C000002
	v_mfma_f32_16x16x32_fp8_fp8 v[12:15], a[158:159], a[78:79], v[12:15]// 00000000EB2C: D3F3000C 1C329D9E
	v_fma_f32 v160, v8, v4, v160                               // 00000000EB34: D1CB00A0 06820908
	v_fma_f32 v161, v9, v4, v161                               // 00000000EB3C: D1CB00A1 06860909
	v_fma_f32 v162, v10, v4, v162                              // 00000000EB44: D1CB00A2 068A090A
	v_fma_f32 v163, v11, v4, v163                              // 00000000EB4C: D1CB00A3 068E090B
	v_mul_f32_dpp v6, v28, v49 row_newbcast:0 row_mask:0xf bank_mask:0xf// 00000000EB54: 0A0C62FA FF01501C
	v_mfma_f32_16x16x32_fp8_fp8 v[8:11], a[144:145], a[80:81], 0// 00000000EB5C: D3F30008 1A02A190
	buffer_load_dwordx4 a[184:187], v85, s[84:87], 0 offen     // 00000000EB64: E05C1000 8095B855
	v_mfma_f32_16x16x32_fp8_fp8 v[8:11], a[146:147], a[82:83], v[8:11]// 00000000EB6C: D3F30008 1C22A592
	v_mfma_f32_16x16x32_fp8_fp8 v[8:11], a[148:149], a[84:85], v[8:11]// 00000000EB74: D3F30008 1C22A994
	ds_read_b128 a[16:19], v2 offset:38144                     // 00000000EB7C: DBFE9500 10000002
	ds_read_b128 a[20:23], v2 offset:38208                     // 00000000EB84: DBFE9540 14000002
	v_mfma_f32_16x16x32_fp8_fp8 v[8:11], a[150:151], a[86:87], v[8:11]// 00000000EB8C: D3F30008 1C22AD96
	v_fma_f32 v196, v12, v4, v196                              // 00000000EB94: D1CB00C4 0712090C
	v_fma_f32 v197, v13, v4, v197                              // 00000000EB9C: D1CB00C5 0716090D
	v_fma_f32 v198, v14, v4, v198                              // 00000000EBA4: D1CB00C6 071A090E
	v_fma_f32 v199, v15, v4, v199                              // 00000000EBAC: D1CB00C7 071E090F
	v_mfma_f32_16x16x32_fp8_fp8 v[12:15], a[152:153], a[80:81], 0// 00000000EBB4: D3F3000C 1A02A198
	buffer_load_dwordx4 a[188:191], v85, s[84:87], 0 offen offset:1024// 00000000EBBC: E05C1400 8095BC55
	v_mfma_f32_16x16x32_fp8_fp8 v[12:15], a[154:155], a[82:83], v[12:15]// 00000000EBC4: D3F3000C 1C32A59A
	v_mfma_f32_16x16x32_fp8_fp8 v[12:15], a[156:157], a[84:85], v[12:15]// 00000000EBCC: D3F3000C 1C32A99C
	ds_read_b128 a[24:27], v2 offset:38656                     // 00000000EBD4: DBFE9700 18000002
	ds_read_b128 a[28:31], v2 offset:38720                     // 00000000EBDC: DBFE9740 1C000002
	v_mfma_f32_16x16x32_fp8_fp8 v[12:15], a[158:159], a[86:87], v[12:15]// 00000000EBE4: D3F3000C 1C32AD9E
	v_fma_f32 v164, v8, v6, v164                               // 00000000EBEC: D1CB00A4 06920D08
	v_fma_f32 v165, v9, v6, v165                               // 00000000EBF4: D1CB00A5 06960D09
	v_fma_f32 v166, v10, v6, v166                              // 00000000EBFC: D1CB00A6 069A0D0A
	v_fma_f32 v167, v11, v6, v167                              // 00000000EC04: D1CB00A7 069E0D0B
	v_mul_f32_dpp v4, v28, v50 row_newbcast:0 row_mask:0xf bank_mask:0xf// 00000000EC0C: 0A0864FA FF01501C
	v_mfma_f32_16x16x32_fp8_fp8 v[8:11], a[144:145], a[88:89], 0// 00000000EC14: D3F30008 1A02B190
	v_mfma_f32_16x16x32_fp8_fp8 v[8:11], a[146:147], a[90:91], v[8:11]// 00000000EC1C: D3F30008 1C22B592
	v_mfma_f32_16x16x32_fp8_fp8 v[8:11], a[148:149], a[92:93], v[8:11]// 00000000EC24: D3F30008 1C22B994
	ds_read_b128 a[32:35], v2 offset:39168                     // 00000000EC2C: DBFE9900 20000002
	ds_read_b128 a[36:39], v2 offset:39232                     // 00000000EC34: DBFE9940 24000002
	v_mfma_f32_16x16x32_fp8_fp8 v[8:11], a[150:151], a[94:95], v[8:11]// 00000000EC3C: D3F30008 1C22BD96
	v_fma_f32 v200, v12, v6, v200                              // 00000000EC44: D1CB00C8 07220D0C
	v_fma_f32 v201, v13, v6, v201                              // 00000000EC4C: D1CB00C9 07260D0D
	v_fma_f32 v202, v14, v6, v202                              // 00000000EC54: D1CB00CA 072A0D0E
	v_fma_f32 v203, v15, v6, v203                              // 00000000EC5C: D1CB00CB 072E0D0F
	v_mfma_f32_16x16x32_fp8_fp8 v[12:15], a[152:153], a[88:89], 0// 00000000EC64: D3F3000C 1A02B198
	v_mfma_f32_16x16x32_fp8_fp8 v[12:15], a[154:155], a[90:91], v[12:15]// 00000000EC6C: D3F3000C 1C32B59A
	v_mfma_f32_16x16x32_fp8_fp8 v[12:15], a[156:157], a[92:93], v[12:15]// 00000000EC74: D3F3000C 1C32B99C
	ds_read_b128 a[40:43], v2 offset:39680                     // 00000000EC7C: DBFE9B00 28000002
	ds_read_b128 a[44:47], v2 offset:39744                     // 00000000EC84: DBFE9B40 2C000002
	v_mfma_f32_16x16x32_fp8_fp8 v[12:15], a[158:159], a[94:95], v[12:15]// 00000000EC8C: D3F3000C 1C32BD9E
	v_fma_f32 v168, v8, v4, v168                               // 00000000EC94: D1CB00A8 06A20908
	v_fma_f32 v169, v9, v4, v169                               // 00000000EC9C: D1CB00A9 06A60909
	v_fma_f32 v170, v10, v4, v170                              // 00000000ECA4: D1CB00AA 06AA090A
	v_fma_f32 v171, v11, v4, v171                              // 00000000ECAC: D1CB00AB 06AE090B
	v_mul_f32_dpp v6, v28, v51 row_newbcast:0 row_mask:0xf bank_mask:0xf// 00000000ECB4: 0A0C66FA FF01501C
	v_mfma_f32_16x16x32_fp8_fp8 v[8:11], a[144:145], a[96:97], 0// 00000000ECBC: D3F30008 1A02C190
	v_mfma_f32_16x16x32_fp8_fp8 v[8:11], a[146:147], a[98:99], v[8:11]// 00000000ECC4: D3F30008 1C22C592
	v_mfma_f32_16x16x32_fp8_fp8 v[8:11], a[148:149], a[100:101], v[8:11]// 00000000ECCC: D3F30008 1C22C994
	ds_read_b128 a[48:51], v2 offset:40192                     // 00000000ECD4: DBFE9D00 30000002
	ds_read_b128 a[52:55], v2 offset:40256                     // 00000000ECDC: DBFE9D40 34000002
	v_mfma_f32_16x16x32_fp8_fp8 v[8:11], a[150:151], a[102:103], v[8:11]// 00000000ECE4: D3F30008 1C22CD96
	v_fma_f32 v204, v12, v4, v204                              // 00000000ECEC: D1CB00CC 0732090C
	v_fma_f32 v205, v13, v4, v205                              // 00000000ECF4: D1CB00CD 0736090D
	v_fma_f32 v206, v14, v4, v206                              // 00000000ECFC: D1CB00CE 073A090E
	v_fma_f32 v207, v15, v4, v207                              // 00000000ED04: D1CB00CF 073E090F
	v_mfma_f32_16x16x32_fp8_fp8 v[12:15], a[152:153], a[96:97], 0// 00000000ED0C: D3F3000C 1A02C198
	v_mfma_f32_16x16x32_fp8_fp8 v[12:15], a[154:155], a[98:99], v[12:15]// 00000000ED14: D3F3000C 1C32C59A
	v_mfma_f32_16x16x32_fp8_fp8 v[12:15], a[156:157], a[100:101], v[12:15]// 00000000ED1C: D3F3000C 1C32C99C
	ds_read_b128 a[56:59], v2 offset:40704                     // 00000000ED24: DBFE9F00 38000002
	ds_read_b128 a[60:63], v2 offset:40768                     // 00000000ED2C: DBFE9F40 3C000002
	v_mfma_f32_16x16x32_fp8_fp8 v[12:15], a[158:159], a[102:103], v[12:15]// 00000000ED34: D3F3000C 1C32CD9E
	v_fma_f32 v172, v8, v6, v172                               // 00000000ED3C: D1CB00AC 06B20D08
	v_fma_f32 v173, v9, v6, v173                               // 00000000ED44: D1CB00AD 06B60D09
	v_fma_f32 v174, v10, v6, v174                              // 00000000ED4C: D1CB00AE 06BA0D0A
	v_fma_f32 v175, v11, v6, v175                              // 00000000ED54: D1CB00AF 06BE0D0B
	v_mul_f32_dpp v4, v28, v52 row_newbcast:0 row_mask:0xf bank_mask:0xf// 00000000ED5C: 0A0868FA FF01501C
	v_mfma_f32_16x16x32_fp8_fp8 v[8:11], a[144:145], a[104:105], 0// 00000000ED64: D3F30008 1A02D190
	v_mfma_f32_16x16x32_fp8_fp8 v[8:11], a[146:147], a[106:107], v[8:11]// 00000000ED6C: D3F30008 1C22D592
	v_mfma_f32_16x16x32_fp8_fp8 v[8:11], a[148:149], a[108:109], v[8:11]// 00000000ED74: D3F30008 1C22D994
	ds_read_b128 a[64:67], v2 offset:41216                     // 00000000ED7C: DBFEA100 40000002
	ds_read_b128 a[68:71], v2 offset:41280                     // 00000000ED84: DBFEA140 44000002
	v_mfma_f32_16x16x32_fp8_fp8 v[8:11], a[150:151], a[110:111], v[8:11]// 00000000ED8C: D3F30008 1C22DD96
	v_fma_f32 v208, v12, v6, v208                              // 00000000ED94: D1CB00D0 07420D0C
	v_fma_f32 v209, v13, v6, v209                              // 00000000ED9C: D1CB00D1 07460D0D
	v_fma_f32 v210, v14, v6, v210                              // 00000000EDA4: D1CB00D2 074A0D0E
	v_fma_f32 v211, v15, v6, v211                              // 00000000EDAC: D1CB00D3 074E0D0F
	v_mfma_f32_16x16x32_fp8_fp8 v[12:15], a[152:153], a[104:105], 0// 00000000EDB4: D3F3000C 1A02D198
	v_mfma_f32_16x16x32_fp8_fp8 v[12:15], a[154:155], a[106:107], v[12:15]// 00000000EDBC: D3F3000C 1C32D59A
	v_mfma_f32_16x16x32_fp8_fp8 v[12:15], a[156:157], a[108:109], v[12:15]// 00000000EDC4: D3F3000C 1C32D99C
	v_mfma_f32_16x16x32_fp8_fp8 v[12:15], a[158:159], a[110:111], v[12:15]// 00000000EDCC: D3F3000C 1C32DD9E
	v_fma_f32 v176, v8, v4, v176                               // 00000000EDD4: D1CB00B0 06C20908
	v_fma_f32 v177, v9, v4, v177                               // 00000000EDDC: D1CB00B1 06C60909
	v_fma_f32 v178, v10, v4, v178                              // 00000000EDE4: D1CB00B2 06CA090A
	v_fma_f32 v179, v11, v4, v179                              // 00000000EDEC: D1CB00B3 06CE090B
	v_mul_f32_dpp v6, v28, v53 row_newbcast:0 row_mask:0xf bank_mask:0xf// 00000000EDF4: 0A0C6AFA FF01501C
	v_mfma_f32_16x16x32_fp8_fp8 v[8:11], a[144:145], a[112:113], 0// 00000000EDFC: D3F30008 1A02E190
	v_mfma_f32_16x16x32_fp8_fp8 v[8:11], a[146:147], a[114:115], v[8:11]// 00000000EE04: D3F30008 1C22E592
	v_mfma_f32_16x16x32_fp8_fp8 v[8:11], a[148:149], a[116:117], v[8:11]// 00000000EE0C: D3F30008 1C22E994
	v_mfma_f32_16x16x32_fp8_fp8 v[8:11], a[150:151], a[118:119], v[8:11]// 00000000EE14: D3F30008 1C22ED96
	v_fma_f32 v212, v12, v4, v212                              // 00000000EE1C: D1CB00D4 0752090C
	v_fma_f32 v213, v13, v4, v213                              // 00000000EE24: D1CB00D5 0756090D
	v_fma_f32 v214, v14, v4, v214                              // 00000000EE2C: D1CB00D6 075A090E
	v_fma_f32 v215, v15, v4, v215                              // 00000000EE34: D1CB00D7 075E090F
	v_mfma_f32_16x16x32_fp8_fp8 v[12:15], a[152:153], a[112:113], 0// 00000000EE3C: D3F3000C 1A02E198
	v_mfma_f32_16x16x32_fp8_fp8 v[12:15], a[154:155], a[114:115], v[12:15]// 00000000EE44: D3F3000C 1C32E59A
	v_mfma_f32_16x16x32_fp8_fp8 v[12:15], a[156:157], a[116:117], v[12:15]// 00000000EE4C: D3F3000C 1C32E99C
	v_mfma_f32_16x16x32_fp8_fp8 v[12:15], a[158:159], a[118:119], v[12:15]// 00000000EE54: D3F3000C 1C32ED9E
	v_fma_f32 v180, v8, v6, v180                               // 00000000EE5C: D1CB00B4 06D20D08
	v_fma_f32 v181, v9, v6, v181                               // 00000000EE64: D1CB00B5 06D60D09
	v_fma_f32 v182, v10, v6, v182                              // 00000000EE6C: D1CB00B6 06DA0D0A
	v_fma_f32 v183, v11, v6, v183                              // 00000000EE74: D1CB00B7 06DE0D0B
	v_mul_f32_dpp v4, v28, v54 row_newbcast:0 row_mask:0xf bank_mask:0xf// 00000000EE7C: 0A086CFA FF01501C
	v_mfma_f32_16x16x32_fp8_fp8 v[8:11], a[144:145], a[120:121], 0// 00000000EE84: D3F30008 1A02F190
	v_mfma_f32_16x16x32_fp8_fp8 v[8:11], a[146:147], a[122:123], v[8:11]// 00000000EE8C: D3F30008 1C22F592
	v_mfma_f32_16x16x32_fp8_fp8 v[8:11], a[148:149], a[124:125], v[8:11]// 00000000EE94: D3F30008 1C22F994
	v_mfma_f32_16x16x32_fp8_fp8 v[8:11], a[150:151], a[126:127], v[8:11]// 00000000EE9C: D3F30008 1C22FD96
	v_fma_f32 v216, v12, v6, v216                              // 00000000EEA4: D1CB00D8 07620D0C
	v_fma_f32 v217, v13, v6, v217                              // 00000000EEAC: D1CB00D9 07660D0D
	v_fma_f32 v218, v14, v6, v218                              // 00000000EEB4: D1CB00DA 076A0D0E
	v_fma_f32 v219, v15, v6, v219                              // 00000000EEBC: D1CB00DB 076E0D0F
	v_mfma_f32_16x16x32_fp8_fp8 v[12:15], a[152:153], a[120:121], 0// 00000000EEC4: D3F3000C 1A02F198
	v_mfma_f32_16x16x32_fp8_fp8 v[12:15], a[154:155], a[122:123], v[12:15]// 00000000EECC: D3F3000C 1C32F59A
	v_mfma_f32_16x16x32_fp8_fp8 v[12:15], a[156:157], a[124:125], v[12:15]// 00000000EED4: D3F3000C 1C32F99C
	v_mfma_f32_16x16x32_fp8_fp8 v[12:15], a[158:159], a[126:127], v[12:15]// 00000000EEDC: D3F3000C 1C32FD9E
	v_fma_f32 v184, v8, v4, v184                               // 00000000EEE4: D1CB00B8 06E20908
	v_fma_f32 v185, v9, v4, v185                               // 00000000EEEC: D1CB00B9 06E60909
	v_fma_f32 v186, v10, v4, v186                              // 00000000EEF4: D1CB00BA 06EA090A
	v_fma_f32 v187, v11, v4, v187                              // 00000000EEFC: D1CB00BB 06EE090B
	v_mul_f32_dpp v6, v28, v55 row_newbcast:0 row_mask:0xf bank_mask:0xf// 00000000EF04: 0A0C6EFA FF01501C
	v_mfma_f32_16x16x32_fp8_fp8 v[8:11], a[144:145], a[128:129], 0// 00000000EF0C: D3F30008 1A030190
	v_mfma_f32_16x16x32_fp8_fp8 v[8:11], a[146:147], a[130:131], v[8:11]// 00000000EF14: D3F30008 1C230592
	v_mfma_f32_16x16x32_fp8_fp8 v[8:11], a[148:149], a[132:133], v[8:11]// 00000000EF1C: D3F30008 1C230994
	v_mfma_f32_16x16x32_fp8_fp8 v[8:11], a[150:151], a[134:135], v[8:11]// 00000000EF24: D3F30008 1C230D96
	v_fma_f32 v220, v12, v4, v220                              // 00000000EF2C: D1CB00DC 0772090C
	v_fma_f32 v221, v13, v4, v221                              // 00000000EF34: D1CB00DD 0776090D
	v_fma_f32 v222, v14, v4, v222                              // 00000000EF3C: D1CB00DE 077A090E
	v_fma_f32 v223, v15, v4, v223                              // 00000000EF44: D1CB00DF 077E090F
	v_mfma_f32_16x16x32_fp8_fp8 v[12:15], a[152:153], a[128:129], 0// 00000000EF4C: D3F3000C 1A030198
	v_mfma_f32_16x16x32_fp8_fp8 v[12:15], a[154:155], a[130:131], v[12:15]// 00000000EF54: D3F3000C 1C33059A
	v_mfma_f32_16x16x32_fp8_fp8 v[12:15], a[156:157], a[132:133], v[12:15]// 00000000EF5C: D3F3000C 1C33099C
	v_mfma_f32_16x16x32_fp8_fp8 v[12:15], a[158:159], a[134:135], v[12:15]// 00000000EF64: D3F3000C 1C330D9E
	v_fma_f32 v188, v8, v6, v188                               // 00000000EF6C: D1CB00BC 06F20D08
	v_fma_f32 v189, v9, v6, v189                               // 00000000EF74: D1CB00BD 06F60D09
	v_fma_f32 v190, v10, v6, v190                              // 00000000EF7C: D1CB00BE 06FA0D0A
	v_fma_f32 v191, v11, v6, v191                              // 00000000EF84: D1CB00BF 06FE0D0B
	v_mul_f32_dpp v4, v28, v56 row_newbcast:0 row_mask:0xf bank_mask:0xf// 00000000EF8C: 0A0870FA FF01501C
	v_mfma_f32_16x16x32_fp8_fp8 v[8:11], a[144:145], a[136:137], 0// 00000000EF94: D3F30008 1A031190
	s_add_u32 s60, 0x180, s80                                  // 00000000EF9C: 803C50FF 00000180
	s_cmp_lt_u32 s60, s81                                      // 00000000EFA4: BF0A513C
	s_cselect_b32 s57, s57, 0                                  // 00000000EFA8: 85398039
	s_cselect_b32 s3, s3, 0                                    // 00000000EFAC: 85038003
	v_mfma_f32_16x16x32_fp8_fp8 v[8:11], a[146:147], a[138:139], v[8:11]// 00000000EFB0: D3F30008 1C231592
	s_add_u32 s60, 0x100, s80                                  // 00000000EFB8: 803C50FF 00000100
	s_cmp_lt_u32 s60, s81                                      // 00000000EFC0: BF0A513C
	s_cselect_b32 s58, s58, 0                                  // 00000000EFC4: 853A803A
	v_mfma_f32_16x16x32_fp8_fp8 v[8:11], a[148:149], a[140:141], v[8:11]// 00000000EFC8: D3F30008 1C231994
	s_add_u32 s60, 0x100, s80                                  // 00000000EFD0: 803C50FF 00000100
	s_cmp_lt_u32 s60, s81                                      // 00000000EFD8: BF0A513C
	s_cselect_b32 s83, s83, 0                                  // 00000000EFDC: 85538053
	s_cselect_b32 s4, s4, 0                                    // 00000000EFE0: 85048004
	v_mfma_f32_16x16x32_fp8_fp8 v[8:11], a[150:151], a[142:143], v[8:11]// 00000000EFE4: D3F30008 1C231D96
	s_add_u32 s24, s58, s24                                    // 00000000EFEC: 8018183A
	s_addc_u32 s25, 0, s25                                     // 00000000EFF0: 82191980
	v_fma_f32 v224, v12, v6, v224                              // 00000000EFF4: D1CB00E0 07820D0C
	v_fma_f32 v225, v13, v6, v225                              // 00000000EFFC: D1CB00E1 07860D0D
	v_fma_f32 v226, v14, v6, v226                              // 00000000F004: D1CB00E2 078A0D0E
	v_fma_f32 v227, v15, v6, v227                              // 00000000F00C: D1CB00E3 078E0D0F
	v_mfma_f32_16x16x32_fp8_fp8 v[12:15], a[152:153], a[136:137], 0// 00000000F014: D3F3000C 1A031198
	s_add_u32 s20, s57, s20                                    // 00000000F01C: 80141439
	s_addc_u32 s21, 0, s21                                     // 00000000F020: 82151580
	s_add_u32 s28, s3, s28                                     // 00000000F024: 801C1C03
	s_addc_u32 s29, 0, s29                                     // 00000000F028: 821D1D80
	v_mfma_f32_16x16x32_fp8_fp8 v[12:15], a[154:155], a[138:139], v[12:15]// 00000000F02C: D3F3000C 1C33159A
	s_add_u32 s84, s83, s84                                    // 00000000F034: 80545453
	s_addc_u32 s85, 0, s85                                     // 00000000F038: 82555580
	v_mfma_f32_16x16x32_fp8_fp8 v[12:15], a[156:157], a[140:141], v[12:15]// 00000000F03C: D3F3000C 1C33199C
	s_add_u32 s32, s4, s32                                     // 00000000F044: 80202004
	s_addc_u32 s33, 0, s33                                     // 00000000F048: 82212180
	v_mfma_f32_16x16x32_fp8_fp8 v[12:15], a[158:159], a[142:143], v[12:15]// 00000000F04C: D3F3000C 1C331D9E
	v_fma_f32 v192, v8, v4, v192                               // 00000000F054: D1CB00C0 07020908
	v_fma_f32 v193, v9, v4, v193                               // 00000000F05C: D1CB00C1 07060909
	v_fma_f32 v194, v10, v4, v194                              // 00000000F064: D1CB00C2 070A090A
	v_fma_f32 v195, v11, v4, v195                              // 00000000F06C: D1CB00C3 070E090B
	v_fma_f32 v228, v12, v4, v228                              // 00000000F074: D1CB00E4 0792090C
	v_fma_f32 v229, v13, v4, v229                              // 00000000F07C: D1CB00E5 0796090D
	v_fma_f32 v230, v14, v4, v230                              // 00000000F084: D1CB00E6 079A090E
	v_fma_f32 v231, v15, v4, v231                              // 00000000F08C: D1CB00E7 079E090F
	s_addk_i32 s80, 0x80                                       // 00000000F094: B7500080
	s_cmp_lt_i32 s80, s81                                      // 00000000F098: BF045150
	s_cbranch_scc0 label_3DF8                                  // 00000000F09C: BF840C4D
	s_waitcnt vmcnt(32) lgkmcnt(0)                             // 00000000F0A0: BF8C8070
	v_mul_f32_dpp v4, v26, v57 row_newbcast:0 row_mask:0xf bank_mask:0xf// 00000000F0A4: 0A0872FA FF01501A
	v_mfma_f32_16x16x32_fp8_fp8 v[8:11], a[160:161], a[0:1], 0 // 00000000F0AC: D3F30008 1A0201A0
	buffer_load_dword v24, v22, s[32:35], 0 offen              // 00000000F0B4: E0501000 80081816
	buffer_load_dwordx4 a[144:147], v84, s[24:27], 0 offen     // 00000000F0BC: E05C1000 80869054
	v_mfma_f32_16x16x32_fp8_fp8 v[8:11], a[162:163], a[2:3], v[8:11]// 00000000F0C4: D3F30008 1C2205A2
	v_mfma_f32_16x16x32_fp8_fp8 v[8:11], a[164:165], a[4:5], v[8:11]// 00000000F0CC: D3F30008 1C2209A4
	v_mfma_f32_16x16x32_fp8_fp8 v[8:11], a[166:167], a[6:7], v[8:11]// 00000000F0D4: D3F30008 1C220DA6
	v_mfma_f32_16x16x32_fp8_fp8 v[12:15], a[168:169], a[0:1], 0// 00000000F0DC: D3F3000C 1A0201A8
	buffer_load_dwordx4 a[148:151], v84, s[24:27], 0 offen offset:1024// 00000000F0E4: E05C1400 80869454
	v_mfma_f32_16x16x32_fp8_fp8 v[12:15], a[170:171], a[2:3], v[12:15]// 00000000F0EC: D3F3000C 1C3205AA
	v_mfma_f32_16x16x32_fp8_fp8 v[12:15], a[172:173], a[4:5], v[12:15]// 00000000F0F4: D3F3000C 1C3209AC
	v_mfma_f32_16x16x32_fp8_fp8 v[12:15], a[174:175], a[6:7], v[12:15]// 00000000F0FC: D3F3000C 1C320DAE
	v_fma_f32 v88, v8, v4, v88                                 // 00000000F104: D1CB0058 05620908
	v_fma_f32 v89, v9, v4, v89                                 // 00000000F10C: D1CB0059 05660909
	v_fma_f32 v90, v10, v4, v90                                // 00000000F114: D1CB005A 056A090A
	v_fma_f32 v91, v11, v4, v91                                // 00000000F11C: D1CB005B 056E090B
	v_mul_f32_dpp v6, v26, v58 row_newbcast:0 row_mask:0xf bank_mask:0xf// 00000000F124: 0A0C74FA FF01501A
	v_mfma_f32_16x16x32_fp8_fp8 v[8:11], a[160:161], a[8:9], 0 // 00000000F12C: D3F30008 1A0211A0
	buffer_load_dwordx4 a[152:155], v85, s[24:27], 0 offen     // 00000000F134: E05C1000 80869855
	v_mfma_f32_16x16x32_fp8_fp8 v[8:11], a[162:163], a[10:11], v[8:11]// 00000000F13C: D3F30008 1C2215A2
	v_mfma_f32_16x16x32_fp8_fp8 v[8:11], a[164:165], a[12:13], v[8:11]// 00000000F144: D3F30008 1C2219A4
	v_mfma_f32_16x16x32_fp8_fp8 v[8:11], a[166:167], a[14:15], v[8:11]// 00000000F14C: D3F30008 1C221DA6
	v_fma_f32 v124, v12, v4, v124                              // 00000000F154: D1CB007C 05F2090C
	v_fma_f32 v125, v13, v4, v125                              // 00000000F15C: D1CB007D 05F6090D
	v_fma_f32 v126, v14, v4, v126                              // 00000000F164: D1CB007E 05FA090E
	v_fma_f32 v127, v15, v4, v127                              // 00000000F16C: D1CB007F 05FE090F
	v_mfma_f32_16x16x32_fp8_fp8 v[12:15], a[168:169], a[8:9], 0// 00000000F174: D3F3000C 1A0211A8
	buffer_load_dwordx4 a[156:159], v85, s[24:27], 0 offen offset:1024// 00000000F17C: E05C1400 80869C55
	buffer_load_dword v66, s[20:23], 0 offen lds               // 00000000F184: E0511000 80050042
	s_add_u32 m0, 0x100, s49                                   // 00000000F18C: 807C31FF 00000100
	v_mfma_f32_16x16x32_fp8_fp8 v[12:15], a[170:171], a[10:11], v[12:15]// 00000000F194: D3F3000C 1C3215AA
	v_mfma_f32_16x16x32_fp8_fp8 v[12:15], a[172:173], a[12:13], v[12:15]// 00000000F19C: D3F3000C 1C3219AC
	buffer_load_dword v67, s[20:23], 0 offen lds               // 00000000F1A4: E0511000 80050043
	s_add_u32 m0, 0x200, s49                                   // 00000000F1AC: 807C31FF 00000200
	v_mfma_f32_16x16x32_fp8_fp8 v[12:15], a[174:175], a[14:15], v[12:15]// 00000000F1B4: D3F3000C 1C321DAE
	v_fma_f32 v92, v8, v6, v92                                 // 00000000F1BC: D1CB005C 05720D08
	v_fma_f32 v93, v9, v6, v93                                 // 00000000F1C4: D1CB005D 05760D09
	v_fma_f32 v94, v10, v6, v94                                // 00000000F1CC: D1CB005E 057A0D0A
	v_fma_f32 v95, v11, v6, v95                                // 00000000F1D4: D1CB005F 057E0D0B
	v_mul_f32_dpp v4, v26, v59 row_newbcast:0 row_mask:0xf bank_mask:0xf// 00000000F1DC: 0A0876FA FF01501A
	v_mfma_f32_16x16x32_fp8_fp8 v[8:11], a[160:161], a[16:17], 0// 00000000F1E4: D3F30008 1A0221A0
	buffer_load_dword v68, s[20:23], 0 offen lds               // 00000000F1EC: E0511000 80050044
	s_add_u32 m0, 0x300, s49                                   // 00000000F1F4: 807C31FF 00000300
	v_mfma_f32_16x16x32_fp8_fp8 v[8:11], a[162:163], a[18:19], v[8:11]// 00000000F1FC: D3F30008 1C2225A2
	v_mfma_f32_16x16x32_fp8_fp8 v[8:11], a[164:165], a[20:21], v[8:11]// 00000000F204: D3F30008 1C2229A4
	buffer_load_dword v69, s[20:23], 0 offen lds               // 00000000F20C: E0511000 80050045
	s_add_u32 m0, 0x400, s49                                   // 00000000F214: 807C31FF 00000400
	v_mfma_f32_16x16x32_fp8_fp8 v[8:11], a[166:167], a[22:23], v[8:11]// 00000000F21C: D3F30008 1C222DA6
	v_fma_f32 v128, v12, v6, v128                              // 00000000F224: D1CB0080 06020D0C
	v_fma_f32 v129, v13, v6, v129                              // 00000000F22C: D1CB0081 06060D0D
	v_fma_f32 v130, v14, v6, v130                              // 00000000F234: D1CB0082 060A0D0E
	v_fma_f32 v131, v15, v6, v131                              // 00000000F23C: D1CB0083 060E0D0F
	v_mfma_f32_16x16x32_fp8_fp8 v[12:15], a[168:169], a[16:17], 0// 00000000F244: D3F3000C 1A0221A8
	buffer_load_dword v70, s[20:23], 0 offen lds               // 00000000F24C: E0511000 80050046
	s_add_u32 m0, 0x500, s49                                   // 00000000F254: 807C31FF 00000500
	v_mfma_f32_16x16x32_fp8_fp8 v[12:15], a[170:171], a[18:19], v[12:15]// 00000000F25C: D3F3000C 1C3225AA
	v_mfma_f32_16x16x32_fp8_fp8 v[12:15], a[172:173], a[20:21], v[12:15]// 00000000F264: D3F3000C 1C3229AC
	buffer_load_dword v71, s[20:23], 0 offen lds               // 00000000F26C: E0511000 80050047
	s_add_u32 m0, 0x600, s49                                   // 00000000F274: 807C31FF 00000600
	v_mfma_f32_16x16x32_fp8_fp8 v[12:15], a[174:175], a[22:23], v[12:15]// 00000000F27C: D3F3000C 1C322DAE
	v_fma_f32 v96, v8, v4, v96                                 // 00000000F284: D1CB0060 05820908
	v_fma_f32 v97, v9, v4, v97                                 // 00000000F28C: D1CB0061 05860909
	v_fma_f32 v98, v10, v4, v98                                // 00000000F294: D1CB0062 058A090A
	v_fma_f32 v99, v11, v4, v99                                // 00000000F29C: D1CB0063 058E090B
	v_mul_f32_dpp v6, v26, v60 row_newbcast:0 row_mask:0xf bank_mask:0xf// 00000000F2A4: 0A0C78FA FF01501A
	v_mfma_f32_16x16x32_fp8_fp8 v[8:11], a[160:161], a[24:25], 0// 00000000F2AC: D3F30008 1A0231A0
	buffer_load_dword v72, s[20:23], 0 offen lds               // 00000000F2B4: E0511000 80050048
	s_add_u32 m0, 0x700, s49                                   // 00000000F2BC: 807C31FF 00000700
	v_mfma_f32_16x16x32_fp8_fp8 v[8:11], a[162:163], a[26:27], v[8:11]// 00000000F2C4: D3F30008 1C2235A2
	v_mfma_f32_16x16x32_fp8_fp8 v[8:11], a[164:165], a[28:29], v[8:11]// 00000000F2CC: D3F30008 1C2239A4
	buffer_load_dword v73, s[20:23], 0 offen lds               // 00000000F2D4: E0511000 80050049
	s_add_u32 m0, 0x800, s49                                   // 00000000F2DC: 807C31FF 00000800
	v_mfma_f32_16x16x32_fp8_fp8 v[8:11], a[166:167], a[30:31], v[8:11]// 00000000F2E4: D3F30008 1C223DA6
	v_fma_f32 v132, v12, v4, v132                              // 00000000F2EC: D1CB0084 0612090C
	v_fma_f32 v133, v13, v4, v133                              // 00000000F2F4: D1CB0085 0616090D
	v_fma_f32 v134, v14, v4, v134                              // 00000000F2FC: D1CB0086 061A090E
	v_fma_f32 v135, v15, v4, v135                              // 00000000F304: D1CB0087 061E090F
	v_mfma_f32_16x16x32_fp8_fp8 v[12:15], a[168:169], a[24:25], 0// 00000000F30C: D3F3000C 1A0231A8
	buffer_load_dword v74, s[20:23], 0 offen lds               // 00000000F314: E0511000 8005004A
	s_add_u32 m0, 0x900, s49                                   // 00000000F31C: 807C31FF 00000900
	v_mfma_f32_16x16x32_fp8_fp8 v[12:15], a[170:171], a[26:27], v[12:15]// 00000000F324: D3F3000C 1C3235AA
	v_mfma_f32_16x16x32_fp8_fp8 v[12:15], a[172:173], a[28:29], v[12:15]// 00000000F32C: D3F3000C 1C3239AC
	buffer_load_dword v75, s[20:23], 0 offen lds               // 00000000F334: E0511000 8005004B
	s_add_u32 m0, 0xa00, s49                                   // 00000000F33C: 807C31FF 00000A00
	v_mfma_f32_16x16x32_fp8_fp8 v[12:15], a[174:175], a[30:31], v[12:15]// 00000000F344: D3F3000C 1C323DAE
	v_fma_f32 v100, v8, v6, v100                               // 00000000F34C: D1CB0064 05920D08
	v_fma_f32 v101, v9, v6, v101                               // 00000000F354: D1CB0065 05960D09
	v_fma_f32 v102, v10, v6, v102                              // 00000000F35C: D1CB0066 059A0D0A
	v_fma_f32 v103, v11, v6, v103                              // 00000000F364: D1CB0067 059E0D0B
	v_mul_f32_dpp v4, v26, v61 row_newbcast:0 row_mask:0xf bank_mask:0xf// 00000000F36C: 0A087AFA FF01501A
	v_mfma_f32_16x16x32_fp8_fp8 v[8:11], a[160:161], a[32:33], 0// 00000000F374: D3F30008 1A0241A0
	buffer_load_dword v76, s[20:23], 0 offen lds               // 00000000F37C: E0511000 8005004C
	s_add_u32 m0, 0xb00, s49                                   // 00000000F384: 807C31FF 00000B00
	v_mfma_f32_16x16x32_fp8_fp8 v[8:11], a[162:163], a[34:35], v[8:11]// 00000000F38C: D3F30008 1C2245A2
	v_mfma_f32_16x16x32_fp8_fp8 v[8:11], a[164:165], a[36:37], v[8:11]// 00000000F394: D3F30008 1C2249A4
	buffer_load_dword v77, s[20:23], 0 offen lds               // 00000000F39C: E0511000 8005004D
	s_add_u32 m0, 0xc00, s49                                   // 00000000F3A4: 807C31FF 00000C00
	v_mfma_f32_16x16x32_fp8_fp8 v[8:11], a[166:167], a[38:39], v[8:11]// 00000000F3AC: D3F30008 1C224DA6
	v_fma_f32 v136, v12, v6, v136                              // 00000000F3B4: D1CB0088 06220D0C
	v_fma_f32 v137, v13, v6, v137                              // 00000000F3BC: D1CB0089 06260D0D
	v_fma_f32 v138, v14, v6, v138                              // 00000000F3C4: D1CB008A 062A0D0E
	v_fma_f32 v139, v15, v6, v139                              // 00000000F3CC: D1CB008B 062E0D0F
	v_mfma_f32_16x16x32_fp8_fp8 v[12:15], a[168:169], a[32:33], 0// 00000000F3D4: D3F3000C 1A0241A8
	buffer_load_dword v78, s[20:23], 0 offen lds               // 00000000F3DC: E0511000 8005004E
	s_add_u32 m0, 0xd00, s49                                   // 00000000F3E4: 807C31FF 00000D00
	v_mfma_f32_16x16x32_fp8_fp8 v[12:15], a[170:171], a[34:35], v[12:15]// 00000000F3EC: D3F3000C 1C3245AA
	v_mfma_f32_16x16x32_fp8_fp8 v[12:15], a[172:173], a[36:37], v[12:15]// 00000000F3F4: D3F3000C 1C3249AC
	buffer_load_dword v79, s[20:23], 0 offen lds               // 00000000F3FC: E0511000 8005004F
	s_add_u32 m0, 0xe00, s49                                   // 00000000F404: 807C31FF 00000E00
	v_mfma_f32_16x16x32_fp8_fp8 v[12:15], a[174:175], a[38:39], v[12:15]// 00000000F40C: D3F3000C 1C324DAE
	v_fma_f32 v104, v8, v4, v104                               // 00000000F414: D1CB0068 05A20908
	v_fma_f32 v105, v9, v4, v105                               // 00000000F41C: D1CB0069 05A60909
	v_fma_f32 v106, v10, v4, v106                              // 00000000F424: D1CB006A 05AA090A
	v_fma_f32 v107, v11, v4, v107                              // 00000000F42C: D1CB006B 05AE090B
	v_mul_f32_dpp v6, v26, v62 row_newbcast:0 row_mask:0xf bank_mask:0xf// 00000000F434: 0A0C7CFA FF01501A
	v_mfma_f32_16x16x32_fp8_fp8 v[8:11], a[160:161], a[40:41], 0// 00000000F43C: D3F30008 1A0251A0
	buffer_load_dword v80, s[20:23], 0 offen lds               // 00000000F444: E0511000 80050050
	s_add_u32 m0, 0xf00, s49                                   // 00000000F44C: 807C31FF 00000F00
	v_mfma_f32_16x16x32_fp8_fp8 v[8:11], a[162:163], a[42:43], v[8:11]// 00000000F454: D3F30008 1C2255A2
	v_mfma_f32_16x16x32_fp8_fp8 v[8:11], a[164:165], a[44:45], v[8:11]// 00000000F45C: D3F30008 1C2259A4
	buffer_load_dword v81, s[20:23], 0 offen lds               // 00000000F464: E0511000 80050051
	s_add_u32 m0, 0x1000, s49                                  // 00000000F46C: 807C31FF 00001000
	v_mfma_f32_16x16x32_fp8_fp8 v[8:11], a[166:167], a[46:47], v[8:11]// 00000000F474: D3F30008 1C225DA6
	v_fma_f32 v140, v12, v4, v140                              // 00000000F47C: D1CB008C 0632090C
	v_fma_f32 v141, v13, v4, v141                              // 00000000F484: D1CB008D 0636090D
	v_fma_f32 v142, v14, v4, v142                              // 00000000F48C: D1CB008E 063A090E
	v_fma_f32 v143, v15, v4, v143                              // 00000000F494: D1CB008F 063E090F
	v_mfma_f32_16x16x32_fp8_fp8 v[12:15], a[168:169], a[40:41], 0// 00000000F49C: D3F3000C 1A0251A8
	buffer_load_dword v82, s[20:23], 0 offen lds               // 00000000F4A4: E0511000 80050052
	s_add_u32 m0, 0x1100, s49                                  // 00000000F4AC: 807C31FF 00001100
	v_mfma_f32_16x16x32_fp8_fp8 v[12:15], a[170:171], a[42:43], v[12:15]// 00000000F4B4: D3F3000C 1C3255AA
	v_mfma_f32_16x16x32_fp8_fp8 v[12:15], a[172:173], a[44:45], v[12:15]// 00000000F4BC: D3F3000C 1C3259AC
	buffer_load_dword v83, s[20:23], 0 offen lds               // 00000000F4C4: E0511000 80050053
	s_add_u32 m0, 0, s50                                       // 00000000F4CC: 807C3280
	v_mfma_f32_16x16x32_fp8_fp8 v[12:15], a[174:175], a[46:47], v[12:15]// 00000000F4D0: D3F3000C 1C325DAE
	v_fma_f32 v108, v8, v6, v108                               // 00000000F4D8: D1CB006C 05B20D08
	v_fma_f32 v109, v9, v6, v109                               // 00000000F4E0: D1CB006D 05B60D09
	v_fma_f32 v110, v10, v6, v110                              // 00000000F4E8: D1CB006E 05BA0D0A
	v_fma_f32 v111, v11, v6, v111                              // 00000000F4F0: D1CB006F 05BE0D0B
	v_mul_f32_dpp v4, v26, v63 row_newbcast:0 row_mask:0xf bank_mask:0xf// 00000000F4F8: 0A087EFA FF01501A
	v_mfma_f32_16x16x32_fp8_fp8 v[8:11], a[160:161], a[48:49], 0// 00000000F500: D3F30008 1A0261A0
	buffer_load_dword v48, v30, s[28:31], 0 offen              // 00000000F508: E0501000 8007301E
	v_mfma_f32_16x16x32_fp8_fp8 v[8:11], a[162:163], a[50:51], v[8:11]// 00000000F510: D3F30008 1C2265A2
	v_mfma_f32_16x16x32_fp8_fp8 v[8:11], a[164:165], a[52:53], v[8:11]// 00000000F518: D3F30008 1C2269A4
	buffer_load_dword v49, v31, s[28:31], 0 offen              // 00000000F520: E0501000 8007311F
	v_mfma_f32_16x16x32_fp8_fp8 v[8:11], a[166:167], a[54:55], v[8:11]// 00000000F528: D3F30008 1C226DA6
	v_fma_f32 v144, v12, v6, v144                              // 00000000F530: D1CB0090 06420D0C
	v_fma_f32 v145, v13, v6, v145                              // 00000000F538: D1CB0091 06460D0D
	v_fma_f32 v146, v14, v6, v146                              // 00000000F540: D1CB0092 064A0D0E
	v_fma_f32 v147, v15, v6, v147                              // 00000000F548: D1CB0093 064E0D0F
	v_mfma_f32_16x16x32_fp8_fp8 v[12:15], a[168:169], a[48:49], 0// 00000000F550: D3F3000C 1A0261A8
	buffer_load_dword v50, v32, s[28:31], 0 offen              // 00000000F558: E0501000 80073220
	v_mfma_f32_16x16x32_fp8_fp8 v[12:15], a[170:171], a[50:51], v[12:15]// 00000000F560: D3F3000C 1C3265AA
	v_mfma_f32_16x16x32_fp8_fp8 v[12:15], a[172:173], a[52:53], v[12:15]// 00000000F568: D3F3000C 1C3269AC
	buffer_load_dword v51, v33, s[28:31], 0 offen              // 00000000F570: E0501000 80073321
	v_mfma_f32_16x16x32_fp8_fp8 v[12:15], a[174:175], a[54:55], v[12:15]// 00000000F578: D3F3000C 1C326DAE
	v_fma_f32 v112, v8, v4, v112                               // 00000000F580: D1CB0070 05C20908
	v_fma_f32 v113, v9, v4, v113                               // 00000000F588: D1CB0071 05C60909
	v_fma_f32 v114, v10, v4, v114                              // 00000000F590: D1CB0072 05CA090A
	v_fma_f32 v115, v11, v4, v115                              // 00000000F598: D1CB0073 05CE090B
	v_mul_f32_dpp v6, v26, v64 row_newbcast:0 row_mask:0xf bank_mask:0xf// 00000000F5A0: 0A0C80FA FF01501A
	v_mfma_f32_16x16x32_fp8_fp8 v[8:11], a[160:161], a[56:57], 0// 00000000F5A8: D3F30008 1A0271A0
	buffer_load_dword v52, v34, s[28:31], 0 offen              // 00000000F5B0: E0501000 80073422
	v_mfma_f32_16x16x32_fp8_fp8 v[8:11], a[162:163], a[58:59], v[8:11]// 00000000F5B8: D3F30008 1C2275A2
	v_mfma_f32_16x16x32_fp8_fp8 v[8:11], a[164:165], a[60:61], v[8:11]// 00000000F5C0: D3F30008 1C2279A4
	buffer_load_dword v53, v35, s[28:31], 0 offen              // 00000000F5C8: E0501000 80073523
	v_mfma_f32_16x16x32_fp8_fp8 v[8:11], a[166:167], a[62:63], v[8:11]// 00000000F5D0: D3F30008 1C227DA6
	v_fma_f32 v148, v12, v4, v148                              // 00000000F5D8: D1CB0094 0652090C
	v_fma_f32 v149, v13, v4, v149                              // 00000000F5E0: D1CB0095 0656090D
	v_fma_f32 v150, v14, v4, v150                              // 00000000F5E8: D1CB0096 065A090E
	v_fma_f32 v151, v15, v4, v151                              // 00000000F5F0: D1CB0097 065E090F
	v_mfma_f32_16x16x32_fp8_fp8 v[12:15], a[168:169], a[56:57], 0// 00000000F5F8: D3F3000C 1A0271A8
	buffer_load_dword v54, v36, s[28:31], 0 offen              // 00000000F600: E0501000 80073624
	v_mfma_f32_16x16x32_fp8_fp8 v[12:15], a[170:171], a[58:59], v[12:15]// 00000000F608: D3F3000C 1C3275AA
	v_mfma_f32_16x16x32_fp8_fp8 v[12:15], a[172:173], a[60:61], v[12:15]// 00000000F610: D3F3000C 1C3279AC
	buffer_load_dword v55, v37, s[28:31], 0 offen              // 00000000F618: E0501000 80073725
	v_mfma_f32_16x16x32_fp8_fp8 v[12:15], a[174:175], a[62:63], v[12:15]// 00000000F620: D3F3000C 1C327DAE
	v_fma_f32 v116, v8, v6, v116                               // 00000000F628: D1CB0074 05D20D08
	v_fma_f32 v117, v9, v6, v117                               // 00000000F630: D1CB0075 05D60D09
	v_fma_f32 v118, v10, v6, v118                              // 00000000F638: D1CB0076 05DA0D0A
	v_fma_f32 v119, v11, v6, v119                              // 00000000F640: D1CB0077 05DE0D0B
	v_mul_f32_dpp v4, v26, v65 row_newbcast:0 row_mask:0xf bank_mask:0xf// 00000000F648: 0A0882FA FF01501A
	v_mfma_f32_16x16x32_fp8_fp8 v[8:11], a[160:161], a[64:65], 0// 00000000F650: D3F30008 1A0281A0
	buffer_load_dword v56, v38, s[28:31], 0 offen              // 00000000F658: E0501000 80073826
	v_mfma_f32_16x16x32_fp8_fp8 v[8:11], a[162:163], a[66:67], v[8:11]// 00000000F660: D3F30008 1C2285A2
	v_mfma_f32_16x16x32_fp8_fp8 v[8:11], a[164:165], a[68:69], v[8:11]// 00000000F668: D3F30008 1C2289A4
	v_mfma_f32_16x16x32_fp8_fp8 v[8:11], a[166:167], a[70:71], v[8:11]// 00000000F670: D3F30008 1C228DA6
	v_fma_f32 v152, v12, v6, v152                              // 00000000F678: D1CB0098 06620D0C
	v_fma_f32 v153, v13, v6, v153                              // 00000000F680: D1CB0099 06660D0D
	v_fma_f32 v154, v14, v6, v154                              // 00000000F688: D1CB009A 066A0D0E
	v_fma_f32 v155, v15, v6, v155                              // 00000000F690: D1CB009B 066E0D0F
	v_mfma_f32_16x16x32_fp8_fp8 v[12:15], a[168:169], a[64:65], 0// 00000000F698: D3F3000C 1A0281A8
	v_mfma_f32_16x16x32_fp8_fp8 v[12:15], a[170:171], a[66:67], v[12:15]// 00000000F6A0: D3F3000C 1C3285AA
	v_mfma_f32_16x16x32_fp8_fp8 v[12:15], a[172:173], a[68:69], v[12:15]// 00000000F6A8: D3F3000C 1C3289AC
	v_mfma_f32_16x16x32_fp8_fp8 v[12:15], a[174:175], a[70:71], v[12:15]// 00000000F6B0: D3F3000C 1C328DAE
	v_fma_f32 v120, v8, v4, v120                               // 00000000F6B8: D1CB0078 05E20908
	v_fma_f32 v121, v9, v4, v121                               // 00000000F6C0: D1CB0079 05E60909
	v_fma_f32 v122, v10, v4, v122                              // 00000000F6C8: D1CB007A 05EA090A
	v_fma_f32 v123, v11, v4, v123                              // 00000000F6D0: D1CB007B 05EE090B
	v_fma_f32 v156, v12, v4, v156                              // 00000000F6D8: D1CB009C 0672090C
	v_fma_f32 v157, v13, v4, v157                              // 00000000F6E0: D1CB009D 0676090D
	v_fma_f32 v158, v14, v4, v158                              // 00000000F6E8: D1CB009E 067A090E
	v_fma_f32 v159, v15, v4, v159                              // 00000000F6F0: D1CB009F 067E090F
	s_waitcnt vmcnt(32)                                        // 00000000F6F8: BF8C8F70
	s_barrier                                                  // 00000000F6FC: BF8A0000
	v_mul_f32_dpp v4, v29, v57 row_newbcast:0 row_mask:0xf bank_mask:0xf// 00000000F700: 0A0872FA FF01501D
	v_mfma_f32_16x16x32_fp8_fp8 v[8:11], a[176:177], a[0:1], 0 // 00000000F708: D3F30008 1A0201B0
	buffer_load_dword v27, v23, s[32:35], 0 offen              // 00000000F710: E0501000 80081B17
	buffer_load_dwordx4 a[160:163], v84, s[84:87], 0 offen     // 00000000F718: E05C1000 8095A054
	v_mfma_f32_16x16x32_fp8_fp8 v[8:11], a[178:179], a[2:3], v[8:11]// 00000000F720: D3F30008 1C2205B2
	v_mfma_f32_16x16x32_fp8_fp8 v[8:11], a[180:181], a[4:5], v[8:11]// 00000000F728: D3F30008 1C2209B4
	ds_read_b128 a[72:75], v2                                  // 00000000F730: DBFE0000 48000002
	ds_read_b128 a[76:79], v2 offset:64                        // 00000000F738: DBFE0040 4C000002
	v_mfma_f32_16x16x32_fp8_fp8 v[8:11], a[182:183], a[6:7], v[8:11]// 00000000F740: D3F30008 1C220DB6
	v_mfma_f32_16x16x32_fp8_fp8 v[12:15], a[184:185], a[0:1], 0// 00000000F748: D3F3000C 1A0201B8
	buffer_load_dwordx4 a[164:167], v84, s[84:87], 0 offen offset:1024// 00000000F750: E05C1400 8095A454
	v_mfma_f32_16x16x32_fp8_fp8 v[12:15], a[186:187], a[2:3], v[12:15]// 00000000F758: D3F3000C 1C3205BA
	v_mfma_f32_16x16x32_fp8_fp8 v[12:15], a[188:189], a[4:5], v[12:15]// 00000000F760: D3F3000C 1C3209BC
	ds_read_b128 a[80:83], v2 offset:512                       // 00000000F768: DBFE0200 50000002
	ds_read_b128 a[84:87], v2 offset:576                       // 00000000F770: DBFE0240 54000002
	v_mfma_f32_16x16x32_fp8_fp8 v[12:15], a[190:191], a[6:7], v[12:15]// 00000000F778: D3F3000C 1C320DBE
	v_fma_f32 v160, v8, v4, v160                               // 00000000F780: D1CB00A0 06820908
	v_fma_f32 v161, v9, v4, v161                               // 00000000F788: D1CB00A1 06860909
	v_fma_f32 v162, v10, v4, v162                              // 00000000F790: D1CB00A2 068A090A
	v_fma_f32 v163, v11, v4, v163                              // 00000000F798: D1CB00A3 068E090B
	v_mul_f32_dpp v6, v29, v58 row_newbcast:0 row_mask:0xf bank_mask:0xf// 00000000F7A0: 0A0C74FA FF01501D
	v_mfma_f32_16x16x32_fp8_fp8 v[8:11], a[176:177], a[8:9], 0 // 00000000F7A8: D3F30008 1A0211B0
	buffer_load_dwordx4 a[168:171], v85, s[84:87], 0 offen     // 00000000F7B0: E05C1000 8095A855
	v_mfma_f32_16x16x32_fp8_fp8 v[8:11], a[178:179], a[10:11], v[8:11]// 00000000F7B8: D3F30008 1C2215B2
	v_mfma_f32_16x16x32_fp8_fp8 v[8:11], a[180:181], a[12:13], v[8:11]// 00000000F7C0: D3F30008 1C2219B4
	ds_read_b128 a[88:91], v2 offset:1024                      // 00000000F7C8: DBFE0400 58000002
	ds_read_b128 a[92:95], v2 offset:1088                      // 00000000F7D0: DBFE0440 5C000002
	v_mfma_f32_16x16x32_fp8_fp8 v[8:11], a[182:183], a[14:15], v[8:11]// 00000000F7D8: D3F30008 1C221DB6
	v_fma_f32 v196, v12, v4, v196                              // 00000000F7E0: D1CB00C4 0712090C
	v_fma_f32 v197, v13, v4, v197                              // 00000000F7E8: D1CB00C5 0716090D
	v_fma_f32 v198, v14, v4, v198                              // 00000000F7F0: D1CB00C6 071A090E
	v_fma_f32 v199, v15, v4, v199                              // 00000000F7F8: D1CB00C7 071E090F
	v_mfma_f32_16x16x32_fp8_fp8 v[12:15], a[184:185], a[8:9], 0// 00000000F800: D3F3000C 1A0211B8
	buffer_load_dwordx4 a[172:175], v85, s[84:87], 0 offen offset:1024// 00000000F808: E05C1400 8095AC55
	v_mfma_f32_16x16x32_fp8_fp8 v[12:15], a[186:187], a[10:11], v[12:15]// 00000000F810: D3F3000C 1C3215BA
	v_mfma_f32_16x16x32_fp8_fp8 v[12:15], a[188:189], a[12:13], v[12:15]// 00000000F818: D3F3000C 1C3219BC
	ds_read_b128 a[96:99], v2 offset:1536                      // 00000000F820: DBFE0600 60000002
	ds_read_b128 a[100:103], v2 offset:1600                    // 00000000F828: DBFE0640 64000002
	v_mfma_f32_16x16x32_fp8_fp8 v[12:15], a[190:191], a[14:15], v[12:15]// 00000000F830: D3F3000C 1C321DBE
	v_fma_f32 v164, v8, v6, v164                               // 00000000F838: D1CB00A4 06920D08
	v_fma_f32 v165, v9, v6, v165                               // 00000000F840: D1CB00A5 06960D09
	v_fma_f32 v166, v10, v6, v166                              // 00000000F848: D1CB00A6 069A0D0A
	v_fma_f32 v167, v11, v6, v167                              // 00000000F850: D1CB00A7 069E0D0B
	v_mul_f32_dpp v4, v29, v59 row_newbcast:0 row_mask:0xf bank_mask:0xf// 00000000F858: 0A0876FA FF01501D
	v_mfma_f32_16x16x32_fp8_fp8 v[8:11], a[176:177], a[16:17], 0// 00000000F860: D3F30008 1A0221B0
	v_mfma_f32_16x16x32_fp8_fp8 v[8:11], a[178:179], a[18:19], v[8:11]// 00000000F868: D3F30008 1C2225B2
	v_mfma_f32_16x16x32_fp8_fp8 v[8:11], a[180:181], a[20:21], v[8:11]// 00000000F870: D3F30008 1C2229B4
	ds_read_b128 a[104:107], v2 offset:2048                    // 00000000F878: DBFE0800 68000002
	ds_read_b128 a[108:111], v2 offset:2112                    // 00000000F880: DBFE0840 6C000002
	v_mfma_f32_16x16x32_fp8_fp8 v[8:11], a[182:183], a[22:23], v[8:11]// 00000000F888: D3F30008 1C222DB6
	v_fma_f32 v200, v12, v6, v200                              // 00000000F890: D1CB00C8 07220D0C
	v_fma_f32 v201, v13, v6, v201                              // 00000000F898: D1CB00C9 07260D0D
	v_fma_f32 v202, v14, v6, v202                              // 00000000F8A0: D1CB00CA 072A0D0E
	v_fma_f32 v203, v15, v6, v203                              // 00000000F8A8: D1CB00CB 072E0D0F
	v_mfma_f32_16x16x32_fp8_fp8 v[12:15], a[184:185], a[16:17], 0// 00000000F8B0: D3F3000C 1A0221B8
	v_mfma_f32_16x16x32_fp8_fp8 v[12:15], a[186:187], a[18:19], v[12:15]// 00000000F8B8: D3F3000C 1C3225BA
	v_mfma_f32_16x16x32_fp8_fp8 v[12:15], a[188:189], a[20:21], v[12:15]// 00000000F8C0: D3F3000C 1C3229BC
	ds_read_b128 a[112:115], v2 offset:2560                    // 00000000F8C8: DBFE0A00 70000002
	ds_read_b128 a[116:119], v2 offset:2624                    // 00000000F8D0: DBFE0A40 74000002
	v_mfma_f32_16x16x32_fp8_fp8 v[12:15], a[190:191], a[22:23], v[12:15]// 00000000F8D8: D3F3000C 1C322DBE
	v_fma_f32 v168, v8, v4, v168                               // 00000000F8E0: D1CB00A8 06A20908
	v_fma_f32 v169, v9, v4, v169                               // 00000000F8E8: D1CB00A9 06A60909
	v_fma_f32 v170, v10, v4, v170                              // 00000000F8F0: D1CB00AA 06AA090A
	v_fma_f32 v171, v11, v4, v171                              // 00000000F8F8: D1CB00AB 06AE090B
	v_mul_f32_dpp v6, v29, v60 row_newbcast:0 row_mask:0xf bank_mask:0xf// 00000000F900: 0A0C78FA FF01501D
	v_mfma_f32_16x16x32_fp8_fp8 v[8:11], a[176:177], a[24:25], 0// 00000000F908: D3F30008 1A0231B0
	v_mfma_f32_16x16x32_fp8_fp8 v[8:11], a[178:179], a[26:27], v[8:11]// 00000000F910: D3F30008 1C2235B2
	v_mfma_f32_16x16x32_fp8_fp8 v[8:11], a[180:181], a[28:29], v[8:11]// 00000000F918: D3F30008 1C2239B4
	ds_read_b128 a[120:123], v2 offset:3072                    // 00000000F920: DBFE0C00 78000002
	ds_read_b128 a[124:127], v2 offset:3136                    // 00000000F928: DBFE0C40 7C000002
	v_mfma_f32_16x16x32_fp8_fp8 v[8:11], a[182:183], a[30:31], v[8:11]// 00000000F930: D3F30008 1C223DB6
	v_fma_f32 v204, v12, v4, v204                              // 00000000F938: D1CB00CC 0732090C
	v_fma_f32 v205, v13, v4, v205                              // 00000000F940: D1CB00CD 0736090D
	v_fma_f32 v206, v14, v4, v206                              // 00000000F948: D1CB00CE 073A090E
	v_fma_f32 v207, v15, v4, v207                              // 00000000F950: D1CB00CF 073E090F
	v_mfma_f32_16x16x32_fp8_fp8 v[12:15], a[184:185], a[24:25], 0// 00000000F958: D3F3000C 1A0231B8
	v_mfma_f32_16x16x32_fp8_fp8 v[12:15], a[186:187], a[26:27], v[12:15]// 00000000F960: D3F3000C 1C3235BA
	v_mfma_f32_16x16x32_fp8_fp8 v[12:15], a[188:189], a[28:29], v[12:15]// 00000000F968: D3F3000C 1C3239BC
	ds_read_b128 a[128:131], v2 offset:3584                    // 00000000F970: DBFE0E00 80000002
	ds_read_b128 a[132:135], v2 offset:3648                    // 00000000F978: DBFE0E40 84000002
	v_mfma_f32_16x16x32_fp8_fp8 v[12:15], a[190:191], a[30:31], v[12:15]// 00000000F980: D3F3000C 1C323DBE
	v_fma_f32 v172, v8, v6, v172                               // 00000000F988: D1CB00AC 06B20D08
	v_fma_f32 v173, v9, v6, v173                               // 00000000F990: D1CB00AD 06B60D09
	v_fma_f32 v174, v10, v6, v174                              // 00000000F998: D1CB00AE 06BA0D0A
	v_fma_f32 v175, v11, v6, v175                              // 00000000F9A0: D1CB00AF 06BE0D0B
	v_mul_f32_dpp v4, v29, v61 row_newbcast:0 row_mask:0xf bank_mask:0xf// 00000000F9A8: 0A087AFA FF01501D
	v_mfma_f32_16x16x32_fp8_fp8 v[8:11], a[176:177], a[32:33], 0// 00000000F9B0: D3F30008 1A0241B0
	v_mfma_f32_16x16x32_fp8_fp8 v[8:11], a[178:179], a[34:35], v[8:11]// 00000000F9B8: D3F30008 1C2245B2
	v_mfma_f32_16x16x32_fp8_fp8 v[8:11], a[180:181], a[36:37], v[8:11]// 00000000F9C0: D3F30008 1C2249B4
	ds_read_b128 a[136:139], v2 offset:4096                    // 00000000F9C8: DBFE1000 88000002
	ds_read_b128 a[140:143], v2 offset:4160                    // 00000000F9D0: DBFE1040 8C000002
	v_mfma_f32_16x16x32_fp8_fp8 v[8:11], a[182:183], a[38:39], v[8:11]// 00000000F9D8: D3F30008 1C224DB6
	v_fma_f32 v208, v12, v6, v208                              // 00000000F9E0: D1CB00D0 07420D0C
	v_fma_f32 v209, v13, v6, v209                              // 00000000F9E8: D1CB00D1 07460D0D
	v_fma_f32 v210, v14, v6, v210                              // 00000000F9F0: D1CB00D2 074A0D0E
	v_fma_f32 v211, v15, v6, v211                              // 00000000F9F8: D1CB00D3 074E0D0F
	v_mfma_f32_16x16x32_fp8_fp8 v[12:15], a[184:185], a[32:33], 0// 00000000FA00: D3F3000C 1A0241B8
	v_mfma_f32_16x16x32_fp8_fp8 v[12:15], a[186:187], a[34:35], v[12:15]// 00000000FA08: D3F3000C 1C3245BA
	v_mfma_f32_16x16x32_fp8_fp8 v[12:15], a[188:189], a[36:37], v[12:15]// 00000000FA10: D3F3000C 1C3249BC
	v_mfma_f32_16x16x32_fp8_fp8 v[12:15], a[190:191], a[38:39], v[12:15]// 00000000FA18: D3F3000C 1C324DBE
	v_fma_f32 v176, v8, v4, v176                               // 00000000FA20: D1CB00B0 06C20908
	v_fma_f32 v177, v9, v4, v177                               // 00000000FA28: D1CB00B1 06C60909
	v_fma_f32 v178, v10, v4, v178                              // 00000000FA30: D1CB00B2 06CA090A
	v_fma_f32 v179, v11, v4, v179                              // 00000000FA38: D1CB00B3 06CE090B
	v_mul_f32_dpp v6, v29, v62 row_newbcast:0 row_mask:0xf bank_mask:0xf// 00000000FA40: 0A0C7CFA FF01501D
	v_mfma_f32_16x16x32_fp8_fp8 v[8:11], a[176:177], a[40:41], 0// 00000000FA48: D3F30008 1A0251B0
	v_mfma_f32_16x16x32_fp8_fp8 v[8:11], a[178:179], a[42:43], v[8:11]// 00000000FA50: D3F30008 1C2255B2
	v_mfma_f32_16x16x32_fp8_fp8 v[8:11], a[180:181], a[44:45], v[8:11]// 00000000FA58: D3F30008 1C2259B4
	v_mfma_f32_16x16x32_fp8_fp8 v[8:11], a[182:183], a[46:47], v[8:11]// 00000000FA60: D3F30008 1C225DB6
	v_fma_f32 v212, v12, v4, v212                              // 00000000FA68: D1CB00D4 0752090C
	v_fma_f32 v213, v13, v4, v213                              // 00000000FA70: D1CB00D5 0756090D
	v_fma_f32 v214, v14, v4, v214                              // 00000000FA78: D1CB00D6 075A090E
	v_fma_f32 v215, v15, v4, v215                              // 00000000FA80: D1CB00D7 075E090F
	v_mfma_f32_16x16x32_fp8_fp8 v[12:15], a[184:185], a[40:41], 0// 00000000FA88: D3F3000C 1A0251B8
	v_mfma_f32_16x16x32_fp8_fp8 v[12:15], a[186:187], a[42:43], v[12:15]// 00000000FA90: D3F3000C 1C3255BA
	v_mfma_f32_16x16x32_fp8_fp8 v[12:15], a[188:189], a[44:45], v[12:15]// 00000000FA98: D3F3000C 1C3259BC
	v_mfma_f32_16x16x32_fp8_fp8 v[12:15], a[190:191], a[46:47], v[12:15]// 00000000FAA0: D3F3000C 1C325DBE
	v_fma_f32 v180, v8, v6, v180                               // 00000000FAA8: D1CB00B4 06D20D08
	v_fma_f32 v181, v9, v6, v181                               // 00000000FAB0: D1CB00B5 06D60D09
	v_fma_f32 v182, v10, v6, v182                              // 00000000FAB8: D1CB00B6 06DA0D0A
	v_fma_f32 v183, v11, v6, v183                              // 00000000FAC0: D1CB00B7 06DE0D0B
	v_mul_f32_dpp v4, v29, v63 row_newbcast:0 row_mask:0xf bank_mask:0xf// 00000000FAC8: 0A087EFA FF01501D
	v_mfma_f32_16x16x32_fp8_fp8 v[8:11], a[176:177], a[48:49], 0// 00000000FAD0: D3F30008 1A0261B0
	v_mfma_f32_16x16x32_fp8_fp8 v[8:11], a[178:179], a[50:51], v[8:11]// 00000000FAD8: D3F30008 1C2265B2
	v_mfma_f32_16x16x32_fp8_fp8 v[8:11], a[180:181], a[52:53], v[8:11]// 00000000FAE0: D3F30008 1C2269B4
	v_mfma_f32_16x16x32_fp8_fp8 v[8:11], a[182:183], a[54:55], v[8:11]// 00000000FAE8: D3F30008 1C226DB6
	v_fma_f32 v216, v12, v6, v216                              // 00000000FAF0: D1CB00D8 07620D0C
	v_fma_f32 v217, v13, v6, v217                              // 00000000FAF8: D1CB00D9 07660D0D
	v_fma_f32 v218, v14, v6, v218                              // 00000000FB00: D1CB00DA 076A0D0E
	v_fma_f32 v219, v15, v6, v219                              // 00000000FB08: D1CB00DB 076E0D0F
	v_mfma_f32_16x16x32_fp8_fp8 v[12:15], a[184:185], a[48:49], 0// 00000000FB10: D3F3000C 1A0261B8
	v_mfma_f32_16x16x32_fp8_fp8 v[12:15], a[186:187], a[50:51], v[12:15]// 00000000FB18: D3F3000C 1C3265BA
	v_mfma_f32_16x16x32_fp8_fp8 v[12:15], a[188:189], a[52:53], v[12:15]// 00000000FB20: D3F3000C 1C3269BC
	v_mfma_f32_16x16x32_fp8_fp8 v[12:15], a[190:191], a[54:55], v[12:15]// 00000000FB28: D3F3000C 1C326DBE
	v_fma_f32 v184, v8, v4, v184                               // 00000000FB30: D1CB00B8 06E20908
	v_fma_f32 v185, v9, v4, v185                               // 00000000FB38: D1CB00B9 06E60909
	v_fma_f32 v186, v10, v4, v186                              // 00000000FB40: D1CB00BA 06EA090A
	v_fma_f32 v187, v11, v4, v187                              // 00000000FB48: D1CB00BB 06EE090B
	v_mul_f32_dpp v6, v29, v64 row_newbcast:0 row_mask:0xf bank_mask:0xf// 00000000FB50: 0A0C80FA FF01501D
	v_mfma_f32_16x16x32_fp8_fp8 v[8:11], a[176:177], a[56:57], 0// 00000000FB58: D3F30008 1A0271B0
	v_mfma_f32_16x16x32_fp8_fp8 v[8:11], a[178:179], a[58:59], v[8:11]// 00000000FB60: D3F30008 1C2275B2
	v_mfma_f32_16x16x32_fp8_fp8 v[8:11], a[180:181], a[60:61], v[8:11]// 00000000FB68: D3F30008 1C2279B4
	v_mfma_f32_16x16x32_fp8_fp8 v[8:11], a[182:183], a[62:63], v[8:11]// 00000000FB70: D3F30008 1C227DB6
	v_fma_f32 v220, v12, v4, v220                              // 00000000FB78: D1CB00DC 0772090C
	v_fma_f32 v221, v13, v4, v221                              // 00000000FB80: D1CB00DD 0776090D
	v_fma_f32 v222, v14, v4, v222                              // 00000000FB88: D1CB00DE 077A090E
	v_fma_f32 v223, v15, v4, v223                              // 00000000FB90: D1CB00DF 077E090F
	v_mfma_f32_16x16x32_fp8_fp8 v[12:15], a[184:185], a[56:57], 0// 00000000FB98: D3F3000C 1A0271B8
	v_mfma_f32_16x16x32_fp8_fp8 v[12:15], a[186:187], a[58:59], v[12:15]// 00000000FBA0: D3F3000C 1C3275BA
	v_mfma_f32_16x16x32_fp8_fp8 v[12:15], a[188:189], a[60:61], v[12:15]// 00000000FBA8: D3F3000C 1C3279BC
	v_mfma_f32_16x16x32_fp8_fp8 v[12:15], a[190:191], a[62:63], v[12:15]// 00000000FBB0: D3F3000C 1C327DBE
	v_fma_f32 v188, v8, v6, v188                               // 00000000FBB8: D1CB00BC 06F20D08
	v_fma_f32 v189, v9, v6, v189                               // 00000000FBC0: D1CB00BD 06F60D09
	v_fma_f32 v190, v10, v6, v190                              // 00000000FBC8: D1CB00BE 06FA0D0A
	v_fma_f32 v191, v11, v6, v191                              // 00000000FBD0: D1CB00BF 06FE0D0B
	v_mul_f32_dpp v4, v29, v65 row_newbcast:0 row_mask:0xf bank_mask:0xf// 00000000FBD8: 0A0882FA FF01501D
	v_mfma_f32_16x16x32_fp8_fp8 v[8:11], a[176:177], a[64:65], 0// 00000000FBE0: D3F30008 1A0281B0
	s_add_u32 s60, 0x180, s80                                  // 00000000FBE8: 803C50FF 00000180
	s_cmp_lt_u32 s60, s81                                      // 00000000FBF0: BF0A513C
	s_cselect_b32 s57, s57, 0                                  // 00000000FBF4: 85398039
	s_cselect_b32 s3, s3, 0                                    // 00000000FBF8: 85038003
	v_mfma_f32_16x16x32_fp8_fp8 v[8:11], a[178:179], a[66:67], v[8:11]// 00000000FBFC: D3F30008 1C2285B2
	s_add_u32 s60, 0x100, s80                                  // 00000000FC04: 803C50FF 00000100
	s_cmp_lt_u32 s60, s81                                      // 00000000FC0C: BF0A513C
	s_cselect_b32 s58, s58, 0                                  // 00000000FC10: 853A803A
	v_mfma_f32_16x16x32_fp8_fp8 v[8:11], a[180:181], a[68:69], v[8:11]// 00000000FC14: D3F30008 1C2289B4
	s_add_u32 s60, 0x100, s80                                  // 00000000FC1C: 803C50FF 00000100
	s_cmp_lt_u32 s60, s81                                      // 00000000FC24: BF0A513C
	s_cselect_b32 s83, s83, 0                                  // 00000000FC28: 85538053
	s_cselect_b32 s4, s4, 0                                    // 00000000FC2C: 85048004
	v_mfma_f32_16x16x32_fp8_fp8 v[8:11], a[182:183], a[70:71], v[8:11]// 00000000FC30: D3F30008 1C228DB6
	s_add_u32 s24, s58, s24                                    // 00000000FC38: 8018183A
	s_addc_u32 s25, 0, s25                                     // 00000000FC3C: 82191980
	v_fma_f32 v224, v12, v6, v224                              // 00000000FC40: D1CB00E0 07820D0C
	v_fma_f32 v225, v13, v6, v225                              // 00000000FC48: D1CB00E1 07860D0D
	v_fma_f32 v226, v14, v6, v226                              // 00000000FC50: D1CB00E2 078A0D0E
	v_fma_f32 v227, v15, v6, v227                              // 00000000FC58: D1CB00E3 078E0D0F
	v_mfma_f32_16x16x32_fp8_fp8 v[12:15], a[184:185], a[64:65], 0// 00000000FC60: D3F3000C 1A0281B8
	s_add_u32 s20, s57, s20                                    // 00000000FC68: 80141439
	s_addc_u32 s21, 0, s21                                     // 00000000FC6C: 82151580
	s_add_u32 s28, s3, s28                                     // 00000000FC70: 801C1C03
	s_addc_u32 s29, 0, s29                                     // 00000000FC74: 821D1D80
	v_mfma_f32_16x16x32_fp8_fp8 v[12:15], a[186:187], a[66:67], v[12:15]// 00000000FC78: D3F3000C 1C3285BA
	s_add_u32 s84, s83, s84                                    // 00000000FC80: 80545453
	s_addc_u32 s85, 0, s85                                     // 00000000FC84: 82555580
	v_mfma_f32_16x16x32_fp8_fp8 v[12:15], a[188:189], a[68:69], v[12:15]// 00000000FC88: D3F3000C 1C3289BC
	s_add_u32 s32, s4, s32                                     // 00000000FC90: 80202004
	s_addc_u32 s33, 0, s33                                     // 00000000FC94: 82212180
	v_mfma_f32_16x16x32_fp8_fp8 v[12:15], a[190:191], a[70:71], v[12:15]// 00000000FC98: D3F3000C 1C328DBE
	v_fma_f32 v192, v8, v4, v192                               // 00000000FCA0: D1CB00C0 07020908
	v_fma_f32 v193, v9, v4, v193                               // 00000000FCA8: D1CB00C1 07060909
	v_fma_f32 v194, v10, v4, v194                              // 00000000FCB0: D1CB00C2 070A090A
	v_fma_f32 v195, v11, v4, v195                              // 00000000FCB8: D1CB00C3 070E090B
	v_fma_f32 v228, v12, v4, v228                              // 00000000FCC0: D1CB00E4 0792090C
	v_fma_f32 v229, v13, v4, v229                              // 00000000FCC8: D1CB00E5 0796090D
	v_fma_f32 v230, v14, v4, v230                              // 00000000FCD0: D1CB00E6 079A090E
	v_fma_f32 v231, v15, v4, v231                              // 00000000FCD8: D1CB00E7 079E090F
	s_addk_i32 s80, 0x80                                       // 00000000FCE0: B7500080
	s_cmp_lt_i32 s80, s81                                      // 00000000FCE4: BF045150
	s_cbranch_scc0 label_3DF8                                  // 00000000FCE8: BF84093A
	s_waitcnt vmcnt(32) lgkmcnt(0)                             // 00000000FCEC: BF8C8070
	v_mul_f32_dpp v4, v24, v39 row_newbcast:0 row_mask:0xf bank_mask:0xf// 00000000FCF0: 0A084EFA FF015018
	v_mfma_f32_16x16x32_fp8_fp8 v[8:11], a[144:145], a[72:73], 0// 00000000FCF8: D3F30008 1A029190
	buffer_load_dword v25, v22, s[32:35], 0 offen              // 00000000FD00: E0501000 80081916
	buffer_load_dwordx4 a[176:179], v84, s[24:27], 0 offen     // 00000000FD08: E05C1000 8086B054
	v_mfma_f32_16x16x32_fp8_fp8 v[8:11], a[146:147], a[74:75], v[8:11]// 00000000FD10: D3F30008 1C229592
	v_mfma_f32_16x16x32_fp8_fp8 v[8:11], a[148:149], a[76:77], v[8:11]// 00000000FD18: D3F30008 1C229994
	v_mfma_f32_16x16x32_fp8_fp8 v[8:11], a[150:151], a[78:79], v[8:11]// 00000000FD20: D3F30008 1C229D96
	v_mfma_f32_16x16x32_fp8_fp8 v[12:15], a[152:153], a[72:73], 0// 00000000FD28: D3F3000C 1A029198
	buffer_load_dwordx4 a[180:183], v84, s[24:27], 0 offen offset:1024// 00000000FD30: E05C1400 8086B454
	v_mfma_f32_16x16x32_fp8_fp8 v[12:15], a[154:155], a[74:75], v[12:15]// 00000000FD38: D3F3000C 1C32959A
	v_mfma_f32_16x16x32_fp8_fp8 v[12:15], a[156:157], a[76:77], v[12:15]// 00000000FD40: D3F3000C 1C32999C
	v_mfma_f32_16x16x32_fp8_fp8 v[12:15], a[158:159], a[78:79], v[12:15]// 00000000FD48: D3F3000C 1C329D9E
	v_fma_f32 v88, v8, v4, v88                                 // 00000000FD50: D1CB0058 05620908
	v_fma_f32 v89, v9, v4, v89                                 // 00000000FD58: D1CB0059 05660909
	v_fma_f32 v90, v10, v4, v90                                // 00000000FD60: D1CB005A 056A090A
	v_fma_f32 v91, v11, v4, v91                                // 00000000FD68: D1CB005B 056E090B
	v_mul_f32_dpp v6, v24, v40 row_newbcast:0 row_mask:0xf bank_mask:0xf// 00000000FD70: 0A0C50FA FF015018
	v_mfma_f32_16x16x32_fp8_fp8 v[8:11], a[144:145], a[80:81], 0// 00000000FD78: D3F30008 1A02A190
	buffer_load_dwordx4 a[184:187], v85, s[24:27], 0 offen     // 00000000FD80: E05C1000 8086B855
	v_mfma_f32_16x16x32_fp8_fp8 v[8:11], a[146:147], a[82:83], v[8:11]// 00000000FD88: D3F30008 1C22A592
	v_mfma_f32_16x16x32_fp8_fp8 v[8:11], a[148:149], a[84:85], v[8:11]// 00000000FD90: D3F30008 1C22A994
	v_mfma_f32_16x16x32_fp8_fp8 v[8:11], a[150:151], a[86:87], v[8:11]// 00000000FD98: D3F30008 1C22AD96
	v_fma_f32 v124, v12, v4, v124                              // 00000000FDA0: D1CB007C 05F2090C
	v_fma_f32 v125, v13, v4, v125                              // 00000000FDA8: D1CB007D 05F6090D
	v_fma_f32 v126, v14, v4, v126                              // 00000000FDB0: D1CB007E 05FA090E
	v_fma_f32 v127, v15, v4, v127                              // 00000000FDB8: D1CB007F 05FE090F
	v_mfma_f32_16x16x32_fp8_fp8 v[12:15], a[152:153], a[80:81], 0// 00000000FDC0: D3F3000C 1A02A198
	buffer_load_dwordx4 a[188:191], v85, s[24:27], 0 offen offset:1024// 00000000FDC8: E05C1400 8086BC55
	buffer_load_dword v66, s[20:23], 0 offen lds               // 00000000FDD0: E0511000 80050042
	s_add_u32 m0, 0x100, s50                                   // 00000000FDD8: 807C32FF 00000100
	v_mfma_f32_16x16x32_fp8_fp8 v[12:15], a[154:155], a[82:83], v[12:15]// 00000000FDE0: D3F3000C 1C32A59A
	v_mfma_f32_16x16x32_fp8_fp8 v[12:15], a[156:157], a[84:85], v[12:15]// 00000000FDE8: D3F3000C 1C32A99C
	buffer_load_dword v67, s[20:23], 0 offen lds               // 00000000FDF0: E0511000 80050043
	s_add_u32 m0, 0x200, s50                                   // 00000000FDF8: 807C32FF 00000200
	v_mfma_f32_16x16x32_fp8_fp8 v[12:15], a[158:159], a[86:87], v[12:15]// 00000000FE00: D3F3000C 1C32AD9E
	v_fma_f32 v92, v8, v6, v92                                 // 00000000FE08: D1CB005C 05720D08
	v_fma_f32 v93, v9, v6, v93                                 // 00000000FE10: D1CB005D 05760D09
	v_fma_f32 v94, v10, v6, v94                                // 00000000FE18: D1CB005E 057A0D0A
	v_fma_f32 v95, v11, v6, v95                                // 00000000FE20: D1CB005F 057E0D0B
	v_mul_f32_dpp v4, v24, v41 row_newbcast:0 row_mask:0xf bank_mask:0xf// 00000000FE28: 0A0852FA FF015018
	v_mfma_f32_16x16x32_fp8_fp8 v[8:11], a[144:145], a[88:89], 0// 00000000FE30: D3F30008 1A02B190
	buffer_load_dword v68, s[20:23], 0 offen lds               // 00000000FE38: E0511000 80050044
	s_add_u32 m0, 0x300, s50                                   // 00000000FE40: 807C32FF 00000300
	v_mfma_f32_16x16x32_fp8_fp8 v[8:11], a[146:147], a[90:91], v[8:11]// 00000000FE48: D3F30008 1C22B592
	v_mfma_f32_16x16x32_fp8_fp8 v[8:11], a[148:149], a[92:93], v[8:11]// 00000000FE50: D3F30008 1C22B994
	buffer_load_dword v69, s[20:23], 0 offen lds               // 00000000FE58: E0511000 80050045
	s_add_u32 m0, 0x400, s50                                   // 00000000FE60: 807C32FF 00000400
	v_mfma_f32_16x16x32_fp8_fp8 v[8:11], a[150:151], a[94:95], v[8:11]// 00000000FE68: D3F30008 1C22BD96
	v_fma_f32 v128, v12, v6, v128                              // 00000000FE70: D1CB0080 06020D0C
	v_fma_f32 v129, v13, v6, v129                              // 00000000FE78: D1CB0081 06060D0D
	v_fma_f32 v130, v14, v6, v130                              // 00000000FE80: D1CB0082 060A0D0E
	v_fma_f32 v131, v15, v6, v131                              // 00000000FE88: D1CB0083 060E0D0F
	v_mfma_f32_16x16x32_fp8_fp8 v[12:15], a[152:153], a[88:89], 0// 00000000FE90: D3F3000C 1A02B198
	buffer_load_dword v70, s[20:23], 0 offen lds               // 00000000FE98: E0511000 80050046
	s_add_u32 m0, 0x500, s50                                   // 00000000FEA0: 807C32FF 00000500
	v_mfma_f32_16x16x32_fp8_fp8 v[12:15], a[154:155], a[90:91], v[12:15]// 00000000FEA8: D3F3000C 1C32B59A
	v_mfma_f32_16x16x32_fp8_fp8 v[12:15], a[156:157], a[92:93], v[12:15]// 00000000FEB0: D3F3000C 1C32B99C
	buffer_load_dword v71, s[20:23], 0 offen lds               // 00000000FEB8: E0511000 80050047
	s_add_u32 m0, 0x600, s50                                   // 00000000FEC0: 807C32FF 00000600
	v_mfma_f32_16x16x32_fp8_fp8 v[12:15], a[158:159], a[94:95], v[12:15]// 00000000FEC8: D3F3000C 1C32BD9E
	v_fma_f32 v96, v8, v4, v96                                 // 00000000FED0: D1CB0060 05820908
	v_fma_f32 v97, v9, v4, v97                                 // 00000000FED8: D1CB0061 05860909
	v_fma_f32 v98, v10, v4, v98                                // 00000000FEE0: D1CB0062 058A090A
	v_fma_f32 v99, v11, v4, v99                                // 00000000FEE8: D1CB0063 058E090B
	v_mul_f32_dpp v6, v24, v42 row_newbcast:0 row_mask:0xf bank_mask:0xf// 00000000FEF0: 0A0C54FA FF015018
	v_mfma_f32_16x16x32_fp8_fp8 v[8:11], a[144:145], a[96:97], 0// 00000000FEF8: D3F30008 1A02C190
	buffer_load_dword v72, s[20:23], 0 offen lds               // 00000000FF00: E0511000 80050048
	s_add_u32 m0, 0x700, s50                                   // 00000000FF08: 807C32FF 00000700
	v_mfma_f32_16x16x32_fp8_fp8 v[8:11], a[146:147], a[98:99], v[8:11]// 00000000FF10: D3F30008 1C22C592
	v_mfma_f32_16x16x32_fp8_fp8 v[8:11], a[148:149], a[100:101], v[8:11]// 00000000FF18: D3F30008 1C22C994
	buffer_load_dword v73, s[20:23], 0 offen lds               // 00000000FF20: E0511000 80050049
	s_add_u32 m0, 0x800, s50                                   // 00000000FF28: 807C32FF 00000800
	v_mfma_f32_16x16x32_fp8_fp8 v[8:11], a[150:151], a[102:103], v[8:11]// 00000000FF30: D3F30008 1C22CD96
	v_fma_f32 v132, v12, v4, v132                              // 00000000FF38: D1CB0084 0612090C
	v_fma_f32 v133, v13, v4, v133                              // 00000000FF40: D1CB0085 0616090D
	v_fma_f32 v134, v14, v4, v134                              // 00000000FF48: D1CB0086 061A090E
	v_fma_f32 v135, v15, v4, v135                              // 00000000FF50: D1CB0087 061E090F
	v_mfma_f32_16x16x32_fp8_fp8 v[12:15], a[152:153], a[96:97], 0// 00000000FF58: D3F3000C 1A02C198
	buffer_load_dword v74, s[20:23], 0 offen lds               // 00000000FF60: E0511000 8005004A
	s_add_u32 m0, 0x900, s50                                   // 00000000FF68: 807C32FF 00000900
	v_mfma_f32_16x16x32_fp8_fp8 v[12:15], a[154:155], a[98:99], v[12:15]// 00000000FF70: D3F3000C 1C32C59A
	v_mfma_f32_16x16x32_fp8_fp8 v[12:15], a[156:157], a[100:101], v[12:15]// 00000000FF78: D3F3000C 1C32C99C
	buffer_load_dword v75, s[20:23], 0 offen lds               // 00000000FF80: E0511000 8005004B
	s_add_u32 m0, 0xa00, s50                                   // 00000000FF88: 807C32FF 00000A00
	v_mfma_f32_16x16x32_fp8_fp8 v[12:15], a[158:159], a[102:103], v[12:15]// 00000000FF90: D3F3000C 1C32CD9E
	v_fma_f32 v100, v8, v6, v100                               // 00000000FF98: D1CB0064 05920D08
	v_fma_f32 v101, v9, v6, v101                               // 00000000FFA0: D1CB0065 05960D09
	v_fma_f32 v102, v10, v6, v102                              // 00000000FFA8: D1CB0066 059A0D0A
	v_fma_f32 v103, v11, v6, v103                              // 00000000FFB0: D1CB0067 059E0D0B
	v_mul_f32_dpp v4, v24, v43 row_newbcast:0 row_mask:0xf bank_mask:0xf// 00000000FFB8: 0A0856FA FF015018
	v_mfma_f32_16x16x32_fp8_fp8 v[8:11], a[144:145], a[104:105], 0// 00000000FFC0: D3F30008 1A02D190
	buffer_load_dword v76, s[20:23], 0 offen lds               // 00000000FFC8: E0511000 8005004C
	s_add_u32 m0, 0xb00, s50                                   // 00000000FFD0: 807C32FF 00000B00
	v_mfma_f32_16x16x32_fp8_fp8 v[8:11], a[146:147], a[106:107], v[8:11]// 00000000FFD8: D3F30008 1C22D592
	v_mfma_f32_16x16x32_fp8_fp8 v[8:11], a[148:149], a[108:109], v[8:11]// 00000000FFE0: D3F30008 1C22D994
	buffer_load_dword v77, s[20:23], 0 offen lds               // 00000000FFE8: E0511000 8005004D
	s_add_u32 m0, 0xc00, s50                                   // 00000000FFF0: 807C32FF 00000C00
	v_mfma_f32_16x16x32_fp8_fp8 v[8:11], a[150:151], a[110:111], v[8:11]// 00000000FFF8: D3F30008 1C22DD96
	v_fma_f32 v136, v12, v6, v136                              // 000000010000: D1CB0088 06220D0C
	v_fma_f32 v137, v13, v6, v137                              // 000000010008: D1CB0089 06260D0D
	v_fma_f32 v138, v14, v6, v138                              // 000000010010: D1CB008A 062A0D0E
	v_fma_f32 v139, v15, v6, v139                              // 000000010018: D1CB008B 062E0D0F
	v_mfma_f32_16x16x32_fp8_fp8 v[12:15], a[152:153], a[104:105], 0// 000000010020: D3F3000C 1A02D198
	buffer_load_dword v78, s[20:23], 0 offen lds               // 000000010028: E0511000 8005004E
	s_add_u32 m0, 0xd00, s50                                   // 000000010030: 807C32FF 00000D00
	v_mfma_f32_16x16x32_fp8_fp8 v[12:15], a[154:155], a[106:107], v[12:15]// 000000010038: D3F3000C 1C32D59A
	v_mfma_f32_16x16x32_fp8_fp8 v[12:15], a[156:157], a[108:109], v[12:15]// 000000010040: D3F3000C 1C32D99C
	buffer_load_dword v79, s[20:23], 0 offen lds               // 000000010048: E0511000 8005004F
	s_add_u32 m0, 0xe00, s50                                   // 000000010050: 807C32FF 00000E00
	v_mfma_f32_16x16x32_fp8_fp8 v[12:15], a[158:159], a[110:111], v[12:15]// 000000010058: D3F3000C 1C32DD9E
	v_fma_f32 v104, v8, v4, v104                               // 000000010060: D1CB0068 05A20908
	v_fma_f32 v105, v9, v4, v105                               // 000000010068: D1CB0069 05A60909
	v_fma_f32 v106, v10, v4, v106                              // 000000010070: D1CB006A 05AA090A
	v_fma_f32 v107, v11, v4, v107                              // 000000010078: D1CB006B 05AE090B
	v_mul_f32_dpp v6, v24, v44 row_newbcast:0 row_mask:0xf bank_mask:0xf// 000000010080: 0A0C58FA FF015018
	v_mfma_f32_16x16x32_fp8_fp8 v[8:11], a[144:145], a[112:113], 0// 000000010088: D3F30008 1A02E190
	buffer_load_dword v80, s[20:23], 0 offen lds               // 000000010090: E0511000 80050050
	s_add_u32 m0, 0xf00, s50                                   // 000000010098: 807C32FF 00000F00
	v_mfma_f32_16x16x32_fp8_fp8 v[8:11], a[146:147], a[114:115], v[8:11]// 0000000100A0: D3F30008 1C22E592
	v_mfma_f32_16x16x32_fp8_fp8 v[8:11], a[148:149], a[116:117], v[8:11]// 0000000100A8: D3F30008 1C22E994
	buffer_load_dword v81, s[20:23], 0 offen lds               // 0000000100B0: E0511000 80050051
	s_add_u32 m0, 0x1000, s50                                  // 0000000100B8: 807C32FF 00001000
	v_mfma_f32_16x16x32_fp8_fp8 v[8:11], a[150:151], a[118:119], v[8:11]// 0000000100C0: D3F30008 1C22ED96
	v_fma_f32 v140, v12, v4, v140                              // 0000000100C8: D1CB008C 0632090C
	v_fma_f32 v141, v13, v4, v141                              // 0000000100D0: D1CB008D 0636090D
	v_fma_f32 v142, v14, v4, v142                              // 0000000100D8: D1CB008E 063A090E
	v_fma_f32 v143, v15, v4, v143                              // 0000000100E0: D1CB008F 063E090F
	v_mfma_f32_16x16x32_fp8_fp8 v[12:15], a[152:153], a[112:113], 0// 0000000100E8: D3F3000C 1A02E198
	buffer_load_dword v82, s[20:23], 0 offen lds               // 0000000100F0: E0511000 80050052
	s_add_u32 m0, 0x1100, s50                                  // 0000000100F8: 807C32FF 00001100
	v_mfma_f32_16x16x32_fp8_fp8 v[12:15], a[154:155], a[114:115], v[12:15]// 000000010100: D3F3000C 1C32E59A
	v_mfma_f32_16x16x32_fp8_fp8 v[12:15], a[156:157], a[116:117], v[12:15]// 000000010108: D3F3000C 1C32E99C
	buffer_load_dword v83, s[20:23], 0 offen lds               // 000000010110: E0511000 80050053
	s_add_u32 m0, 0, s48                                       // 000000010118: 807C3080
	v_mfma_f32_16x16x32_fp8_fp8 v[12:15], a[158:159], a[118:119], v[12:15]// 00000001011C: D3F3000C 1C32ED9E
	v_fma_f32 v108, v8, v6, v108                               // 000000010124: D1CB006C 05B20D08
	v_fma_f32 v109, v9, v6, v109                               // 00000001012C: D1CB006D 05B60D09
	v_fma_f32 v110, v10, v6, v110                              // 000000010134: D1CB006E 05BA0D0A
	v_fma_f32 v111, v11, v6, v111                              // 00000001013C: D1CB006F 05BE0D0B
	v_mul_f32_dpp v4, v24, v45 row_newbcast:0 row_mask:0xf bank_mask:0xf// 000000010144: 0A085AFA FF015018
	v_mfma_f32_16x16x32_fp8_fp8 v[8:11], a[144:145], a[120:121], 0// 00000001014C: D3F30008 1A02F190
	buffer_load_dword v57, v30, s[28:31], 0 offen              // 000000010154: E0501000 8007391E
	v_mfma_f32_16x16x32_fp8_fp8 v[8:11], a[146:147], a[122:123], v[8:11]// 00000001015C: D3F30008 1C22F592
	v_mfma_f32_16x16x32_fp8_fp8 v[8:11], a[148:149], a[124:125], v[8:11]// 000000010164: D3F30008 1C22F994
	buffer_load_dword v58, v31, s[28:31], 0 offen              // 00000001016C: E0501000 80073A1F
	v_mfma_f32_16x16x32_fp8_fp8 v[8:11], a[150:151], a[126:127], v[8:11]// 000000010174: D3F30008 1C22FD96
	v_fma_f32 v144, v12, v6, v144                              // 00000001017C: D1CB0090 06420D0C
	v_fma_f32 v145, v13, v6, v145                              // 000000010184: D1CB0091 06460D0D
	v_fma_f32 v146, v14, v6, v146                              // 00000001018C: D1CB0092 064A0D0E
	v_fma_f32 v147, v15, v6, v147                              // 000000010194: D1CB0093 064E0D0F
	v_mfma_f32_16x16x32_fp8_fp8 v[12:15], a[152:153], a[120:121], 0// 00000001019C: D3F3000C 1A02F198
	buffer_load_dword v59, v32, s[28:31], 0 offen              // 0000000101A4: E0501000 80073B20
	v_mfma_f32_16x16x32_fp8_fp8 v[12:15], a[154:155], a[122:123], v[12:15]// 0000000101AC: D3F3000C 1C32F59A
	v_mfma_f32_16x16x32_fp8_fp8 v[12:15], a[156:157], a[124:125], v[12:15]// 0000000101B4: D3F3000C 1C32F99C
	buffer_load_dword v60, v33, s[28:31], 0 offen              // 0000000101BC: E0501000 80073C21
	v_mfma_f32_16x16x32_fp8_fp8 v[12:15], a[158:159], a[126:127], v[12:15]// 0000000101C4: D3F3000C 1C32FD9E
	v_fma_f32 v112, v8, v4, v112                               // 0000000101CC: D1CB0070 05C20908
	v_fma_f32 v113, v9, v4, v113                               // 0000000101D4: D1CB0071 05C60909
	v_fma_f32 v114, v10, v4, v114                              // 0000000101DC: D1CB0072 05CA090A
	v_fma_f32 v115, v11, v4, v115                              // 0000000101E4: D1CB0073 05CE090B
	v_mul_f32_dpp v6, v24, v46 row_newbcast:0 row_mask:0xf bank_mask:0xf// 0000000101EC: 0A0C5CFA FF015018
	v_mfma_f32_16x16x32_fp8_fp8 v[8:11], a[144:145], a[128:129], 0// 0000000101F4: D3F30008 1A030190
	buffer_load_dword v61, v34, s[28:31], 0 offen              // 0000000101FC: E0501000 80073D22
	v_mfma_f32_16x16x32_fp8_fp8 v[8:11], a[146:147], a[130:131], v[8:11]// 000000010204: D3F30008 1C230592
	v_mfma_f32_16x16x32_fp8_fp8 v[8:11], a[148:149], a[132:133], v[8:11]// 00000001020C: D3F30008 1C230994
	buffer_load_dword v62, v35, s[28:31], 0 offen              // 000000010214: E0501000 80073E23
	v_mfma_f32_16x16x32_fp8_fp8 v[8:11], a[150:151], a[134:135], v[8:11]// 00000001021C: D3F30008 1C230D96
	v_fma_f32 v148, v12, v4, v148                              // 000000010224: D1CB0094 0652090C
	v_fma_f32 v149, v13, v4, v149                              // 00000001022C: D1CB0095 0656090D
	v_fma_f32 v150, v14, v4, v150                              // 000000010234: D1CB0096 065A090E
	v_fma_f32 v151, v15, v4, v151                              // 00000001023C: D1CB0097 065E090F
	v_mfma_f32_16x16x32_fp8_fp8 v[12:15], a[152:153], a[128:129], 0// 000000010244: D3F3000C 1A030198
	buffer_load_dword v63, v36, s[28:31], 0 offen              // 00000001024C: E0501000 80073F24
	v_mfma_f32_16x16x32_fp8_fp8 v[12:15], a[154:155], a[130:131], v[12:15]// 000000010254: D3F3000C 1C33059A
	v_mfma_f32_16x16x32_fp8_fp8 v[12:15], a[156:157], a[132:133], v[12:15]// 00000001025C: D3F3000C 1C33099C
	buffer_load_dword v64, v37, s[28:31], 0 offen              // 000000010264: E0501000 80074025
	v_mfma_f32_16x16x32_fp8_fp8 v[12:15], a[158:159], a[134:135], v[12:15]// 00000001026C: D3F3000C 1C330D9E
	v_fma_f32 v116, v8, v6, v116                               // 000000010274: D1CB0074 05D20D08
	v_fma_f32 v117, v9, v6, v117                               // 00000001027C: D1CB0075 05D60D09
	v_fma_f32 v118, v10, v6, v118                              // 000000010284: D1CB0076 05DA0D0A
	v_fma_f32 v119, v11, v6, v119                              // 00000001028C: D1CB0077 05DE0D0B
	v_mul_f32_dpp v4, v24, v47 row_newbcast:0 row_mask:0xf bank_mask:0xf// 000000010294: 0A085EFA FF015018
	v_mfma_f32_16x16x32_fp8_fp8 v[8:11], a[144:145], a[136:137], 0// 00000001029C: D3F30008 1A031190
	buffer_load_dword v65, v38, s[28:31], 0 offen              // 0000000102A4: E0501000 80074126
	v_mfma_f32_16x16x32_fp8_fp8 v[8:11], a[146:147], a[138:139], v[8:11]// 0000000102AC: D3F30008 1C231592
	v_mfma_f32_16x16x32_fp8_fp8 v[8:11], a[148:149], a[140:141], v[8:11]// 0000000102B4: D3F30008 1C231994
	v_mfma_f32_16x16x32_fp8_fp8 v[8:11], a[150:151], a[142:143], v[8:11]// 0000000102BC: D3F30008 1C231D96
	v_fma_f32 v152, v12, v6, v152                              // 0000000102C4: D1CB0098 06620D0C
	v_fma_f32 v153, v13, v6, v153                              // 0000000102CC: D1CB0099 06660D0D
	v_fma_f32 v154, v14, v6, v154                              // 0000000102D4: D1CB009A 066A0D0E
	v_fma_f32 v155, v15, v6, v155                              // 0000000102DC: D1CB009B 066E0D0F
	v_mfma_f32_16x16x32_fp8_fp8 v[12:15], a[152:153], a[136:137], 0// 0000000102E4: D3F3000C 1A031198
	v_mfma_f32_16x16x32_fp8_fp8 v[12:15], a[154:155], a[138:139], v[12:15]// 0000000102EC: D3F3000C 1C33159A
	v_mfma_f32_16x16x32_fp8_fp8 v[12:15], a[156:157], a[140:141], v[12:15]// 0000000102F4: D3F3000C 1C33199C
	v_mfma_f32_16x16x32_fp8_fp8 v[12:15], a[158:159], a[142:143], v[12:15]// 0000000102FC: D3F3000C 1C331D9E
	v_fma_f32 v120, v8, v4, v120                               // 000000010304: D1CB0078 05E20908
	v_fma_f32 v121, v9, v4, v121                               // 00000001030C: D1CB0079 05E60909
	v_fma_f32 v122, v10, v4, v122                              // 000000010314: D1CB007A 05EA090A
	v_fma_f32 v123, v11, v4, v123                              // 00000001031C: D1CB007B 05EE090B
	v_fma_f32 v156, v12, v4, v156                              // 000000010324: D1CB009C 0672090C
	v_fma_f32 v157, v13, v4, v157                              // 00000001032C: D1CB009D 0676090D
	v_fma_f32 v158, v14, v4, v158                              // 000000010334: D1CB009E 067A090E
	v_fma_f32 v159, v15, v4, v159                              // 00000001033C: D1CB009F 067E090F
	s_waitcnt vmcnt(32)                                        // 000000010344: BF8C8F70
	s_barrier                                                  // 000000010348: BF8A0000
	v_mul_f32_dpp v4, v27, v39 row_newbcast:0 row_mask:0xf bank_mask:0xf// 00000001034C: 0A084EFA FF01501B
	v_mfma_f32_16x16x32_fp8_fp8 v[8:11], a[160:161], a[72:73], 0// 000000010354: D3F30008 1A0291A0
	buffer_load_dword v28, v23, s[32:35], 0 offen              // 00000001035C: E0501000 80081C17
	buffer_load_dwordx4 a[144:147], v84, s[84:87], 0 offen     // 000000010364: E05C1000 80959054
	v_mfma_f32_16x16x32_fp8_fp8 v[8:11], a[162:163], a[74:75], v[8:11]// 00000001036C: D3F30008 1C2295A2
	v_mfma_f32_16x16x32_fp8_fp8 v[8:11], a[164:165], a[76:77], v[8:11]// 000000010374: D3F30008 1C2299A4
	ds_read_b128 a[0:3], v2 offset:18560                       // 00000001037C: DBFE4880 00000002
	ds_read_b128 a[4:7], v2 offset:18624                       // 000000010384: DBFE48C0 04000002
	v_mfma_f32_16x16x32_fp8_fp8 v[8:11], a[166:167], a[78:79], v[8:11]// 00000001038C: D3F30008 1C229DA6
	v_mfma_f32_16x16x32_fp8_fp8 v[12:15], a[168:169], a[72:73], 0// 000000010394: D3F3000C 1A0291A8
	buffer_load_dwordx4 a[148:151], v84, s[84:87], 0 offen offset:1024// 00000001039C: E05C1400 80959454
	v_mfma_f32_16x16x32_fp8_fp8 v[12:15], a[170:171], a[74:75], v[12:15]// 0000000103A4: D3F3000C 1C3295AA
	v_mfma_f32_16x16x32_fp8_fp8 v[12:15], a[172:173], a[76:77], v[12:15]// 0000000103AC: D3F3000C 1C3299AC
	ds_read_b128 a[8:11], v2 offset:19072                      // 0000000103B4: DBFE4A80 08000002
	ds_read_b128 a[12:15], v2 offset:19136                     // 0000000103BC: DBFE4AC0 0C000002
	v_mfma_f32_16x16x32_fp8_fp8 v[12:15], a[174:175], a[78:79], v[12:15]// 0000000103C4: D3F3000C 1C329DAE
	v_fma_f32 v160, v8, v4, v160                               // 0000000103CC: D1CB00A0 06820908
	v_fma_f32 v161, v9, v4, v161                               // 0000000103D4: D1CB00A1 06860909
	v_fma_f32 v162, v10, v4, v162                              // 0000000103DC: D1CB00A2 068A090A
	v_fma_f32 v163, v11, v4, v163                              // 0000000103E4: D1CB00A3 068E090B
	v_mul_f32_dpp v6, v27, v40 row_newbcast:0 row_mask:0xf bank_mask:0xf// 0000000103EC: 0A0C50FA FF01501B
	v_mfma_f32_16x16x32_fp8_fp8 v[8:11], a[160:161], a[80:81], 0// 0000000103F4: D3F30008 1A02A1A0
	buffer_load_dwordx4 a[152:155], v85, s[84:87], 0 offen     // 0000000103FC: E05C1000 80959855
	v_mfma_f32_16x16x32_fp8_fp8 v[8:11], a[162:163], a[82:83], v[8:11]// 000000010404: D3F30008 1C22A5A2
	v_mfma_f32_16x16x32_fp8_fp8 v[8:11], a[164:165], a[84:85], v[8:11]// 00000001040C: D3F30008 1C22A9A4
	ds_read_b128 a[16:19], v2 offset:19584                     // 000000010414: DBFE4C80 10000002
	ds_read_b128 a[20:23], v2 offset:19648                     // 00000001041C: DBFE4CC0 14000002
	v_mfma_f32_16x16x32_fp8_fp8 v[8:11], a[166:167], a[86:87], v[8:11]// 000000010424: D3F30008 1C22ADA6
	v_fma_f32 v196, v12, v4, v196                              // 00000001042C: D1CB00C4 0712090C
	v_fma_f32 v197, v13, v4, v197                              // 000000010434: D1CB00C5 0716090D
	v_fma_f32 v198, v14, v4, v198                              // 00000001043C: D1CB00C6 071A090E
	v_fma_f32 v199, v15, v4, v199                              // 000000010444: D1CB00C7 071E090F
	v_mfma_f32_16x16x32_fp8_fp8 v[12:15], a[168:169], a[80:81], 0// 00000001044C: D3F3000C 1A02A1A8
	buffer_load_dwordx4 a[156:159], v85, s[84:87], 0 offen offset:1024// 000000010454: E05C1400 80959C55
	v_mfma_f32_16x16x32_fp8_fp8 v[12:15], a[170:171], a[82:83], v[12:15]// 00000001045C: D3F3000C 1C32A5AA
	v_mfma_f32_16x16x32_fp8_fp8 v[12:15], a[172:173], a[84:85], v[12:15]// 000000010464: D3F3000C 1C32A9AC
	ds_read_b128 a[24:27], v2 offset:20096                     // 00000001046C: DBFE4E80 18000002
	ds_read_b128 a[28:31], v2 offset:20160                     // 000000010474: DBFE4EC0 1C000002
	v_mfma_f32_16x16x32_fp8_fp8 v[12:15], a[174:175], a[86:87], v[12:15]// 00000001047C: D3F3000C 1C32ADAE
	v_fma_f32 v164, v8, v6, v164                               // 000000010484: D1CB00A4 06920D08
	v_fma_f32 v165, v9, v6, v165                               // 00000001048C: D1CB00A5 06960D09
	v_fma_f32 v166, v10, v6, v166                              // 000000010494: D1CB00A6 069A0D0A
	v_fma_f32 v167, v11, v6, v167                              // 00000001049C: D1CB00A7 069E0D0B
	v_mul_f32_dpp v4, v27, v41 row_newbcast:0 row_mask:0xf bank_mask:0xf// 0000000104A4: 0A0852FA FF01501B
	v_mfma_f32_16x16x32_fp8_fp8 v[8:11], a[160:161], a[88:89], 0// 0000000104AC: D3F30008 1A02B1A0
	v_mfma_f32_16x16x32_fp8_fp8 v[8:11], a[162:163], a[90:91], v[8:11]// 0000000104B4: D3F30008 1C22B5A2
	v_mfma_f32_16x16x32_fp8_fp8 v[8:11], a[164:165], a[92:93], v[8:11]// 0000000104BC: D3F30008 1C22B9A4
	ds_read_b128 a[32:35], v2 offset:20608                     // 0000000104C4: DBFE5080 20000002
	ds_read_b128 a[36:39], v2 offset:20672                     // 0000000104CC: DBFE50C0 24000002
	v_mfma_f32_16x16x32_fp8_fp8 v[8:11], a[166:167], a[94:95], v[8:11]// 0000000104D4: D3F30008 1C22BDA6
	v_fma_f32 v200, v12, v6, v200                              // 0000000104DC: D1CB00C8 07220D0C
	v_fma_f32 v201, v13, v6, v201                              // 0000000104E4: D1CB00C9 07260D0D
	v_fma_f32 v202, v14, v6, v202                              // 0000000104EC: D1CB00CA 072A0D0E
	v_fma_f32 v203, v15, v6, v203                              // 0000000104F4: D1CB00CB 072E0D0F
	v_mfma_f32_16x16x32_fp8_fp8 v[12:15], a[168:169], a[88:89], 0// 0000000104FC: D3F3000C 1A02B1A8
	v_mfma_f32_16x16x32_fp8_fp8 v[12:15], a[170:171], a[90:91], v[12:15]// 000000010504: D3F3000C 1C32B5AA
	v_mfma_f32_16x16x32_fp8_fp8 v[12:15], a[172:173], a[92:93], v[12:15]// 00000001050C: D3F3000C 1C32B9AC
	ds_read_b128 a[40:43], v2 offset:21120                     // 000000010514: DBFE5280 28000002
	ds_read_b128 a[44:47], v2 offset:21184                     // 00000001051C: DBFE52C0 2C000002
	v_mfma_f32_16x16x32_fp8_fp8 v[12:15], a[174:175], a[94:95], v[12:15]// 000000010524: D3F3000C 1C32BDAE
	v_fma_f32 v168, v8, v4, v168                               // 00000001052C: D1CB00A8 06A20908
	v_fma_f32 v169, v9, v4, v169                               // 000000010534: D1CB00A9 06A60909
	v_fma_f32 v170, v10, v4, v170                              // 00000001053C: D1CB00AA 06AA090A
	v_fma_f32 v171, v11, v4, v171                              // 000000010544: D1CB00AB 06AE090B
	v_mul_f32_dpp v6, v27, v42 row_newbcast:0 row_mask:0xf bank_mask:0xf// 00000001054C: 0A0C54FA FF01501B
	v_mfma_f32_16x16x32_fp8_fp8 v[8:11], a[160:161], a[96:97], 0// 000000010554: D3F30008 1A02C1A0
	v_mfma_f32_16x16x32_fp8_fp8 v[8:11], a[162:163], a[98:99], v[8:11]// 00000001055C: D3F30008 1C22C5A2
	v_mfma_f32_16x16x32_fp8_fp8 v[8:11], a[164:165], a[100:101], v[8:11]// 000000010564: D3F30008 1C22C9A4
	ds_read_b128 a[48:51], v2 offset:21632                     // 00000001056C: DBFE5480 30000002
	ds_read_b128 a[52:55], v2 offset:21696                     // 000000010574: DBFE54C0 34000002
	v_mfma_f32_16x16x32_fp8_fp8 v[8:11], a[166:167], a[102:103], v[8:11]// 00000001057C: D3F30008 1C22CDA6
	v_fma_f32 v204, v12, v4, v204                              // 000000010584: D1CB00CC 0732090C
	v_fma_f32 v205, v13, v4, v205                              // 00000001058C: D1CB00CD 0736090D
	v_fma_f32 v206, v14, v4, v206                              // 000000010594: D1CB00CE 073A090E
	v_fma_f32 v207, v15, v4, v207                              // 00000001059C: D1CB00CF 073E090F
	v_mfma_f32_16x16x32_fp8_fp8 v[12:15], a[168:169], a[96:97], 0// 0000000105A4: D3F3000C 1A02C1A8
	v_mfma_f32_16x16x32_fp8_fp8 v[12:15], a[170:171], a[98:99], v[12:15]// 0000000105AC: D3F3000C 1C32C5AA
	v_mfma_f32_16x16x32_fp8_fp8 v[12:15], a[172:173], a[100:101], v[12:15]// 0000000105B4: D3F3000C 1C32C9AC
	ds_read_b128 a[56:59], v2 offset:22144                     // 0000000105BC: DBFE5680 38000002
	ds_read_b128 a[60:63], v2 offset:22208                     // 0000000105C4: DBFE56C0 3C000002
	v_mfma_f32_16x16x32_fp8_fp8 v[12:15], a[174:175], a[102:103], v[12:15]// 0000000105CC: D3F3000C 1C32CDAE
	v_fma_f32 v172, v8, v6, v172                               // 0000000105D4: D1CB00AC 06B20D08
	v_fma_f32 v173, v9, v6, v173                               // 0000000105DC: D1CB00AD 06B60D09
	v_fma_f32 v174, v10, v6, v174                              // 0000000105E4: D1CB00AE 06BA0D0A
	v_fma_f32 v175, v11, v6, v175                              // 0000000105EC: D1CB00AF 06BE0D0B
	v_mul_f32_dpp v4, v27, v43 row_newbcast:0 row_mask:0xf bank_mask:0xf// 0000000105F4: 0A0856FA FF01501B
	v_mfma_f32_16x16x32_fp8_fp8 v[8:11], a[160:161], a[104:105], 0// 0000000105FC: D3F30008 1A02D1A0
	v_mfma_f32_16x16x32_fp8_fp8 v[8:11], a[162:163], a[106:107], v[8:11]// 000000010604: D3F30008 1C22D5A2
	v_mfma_f32_16x16x32_fp8_fp8 v[8:11], a[164:165], a[108:109], v[8:11]// 00000001060C: D3F30008 1C22D9A4
	ds_read_b128 a[64:67], v2 offset:22656                     // 000000010614: DBFE5880 40000002
	ds_read_b128 a[68:71], v2 offset:22720                     // 00000001061C: DBFE58C0 44000002
	v_mfma_f32_16x16x32_fp8_fp8 v[8:11], a[166:167], a[110:111], v[8:11]// 000000010624: D3F30008 1C22DDA6
	v_fma_f32 v208, v12, v6, v208                              // 00000001062C: D1CB00D0 07420D0C
	v_fma_f32 v209, v13, v6, v209                              // 000000010634: D1CB00D1 07460D0D
	v_fma_f32 v210, v14, v6, v210                              // 00000001063C: D1CB00D2 074A0D0E
	v_fma_f32 v211, v15, v6, v211                              // 000000010644: D1CB00D3 074E0D0F
	v_mfma_f32_16x16x32_fp8_fp8 v[12:15], a[168:169], a[104:105], 0// 00000001064C: D3F3000C 1A02D1A8
	v_mfma_f32_16x16x32_fp8_fp8 v[12:15], a[170:171], a[106:107], v[12:15]// 000000010654: D3F3000C 1C32D5AA
	v_mfma_f32_16x16x32_fp8_fp8 v[12:15], a[172:173], a[108:109], v[12:15]// 00000001065C: D3F3000C 1C32D9AC
	v_mfma_f32_16x16x32_fp8_fp8 v[12:15], a[174:175], a[110:111], v[12:15]// 000000010664: D3F3000C 1C32DDAE
	v_fma_f32 v176, v8, v4, v176                               // 00000001066C: D1CB00B0 06C20908
	v_fma_f32 v177, v9, v4, v177                               // 000000010674: D1CB00B1 06C60909
	v_fma_f32 v178, v10, v4, v178                              // 00000001067C: D1CB00B2 06CA090A
	v_fma_f32 v179, v11, v4, v179                              // 000000010684: D1CB00B3 06CE090B
	v_mul_f32_dpp v6, v27, v44 row_newbcast:0 row_mask:0xf bank_mask:0xf// 00000001068C: 0A0C58FA FF01501B
	v_mfma_f32_16x16x32_fp8_fp8 v[8:11], a[160:161], a[112:113], 0// 000000010694: D3F30008 1A02E1A0
	v_mfma_f32_16x16x32_fp8_fp8 v[8:11], a[162:163], a[114:115], v[8:11]// 00000001069C: D3F30008 1C22E5A2
	v_mfma_f32_16x16x32_fp8_fp8 v[8:11], a[164:165], a[116:117], v[8:11]// 0000000106A4: D3F30008 1C22E9A4
	v_mfma_f32_16x16x32_fp8_fp8 v[8:11], a[166:167], a[118:119], v[8:11]// 0000000106AC: D3F30008 1C22EDA6
	v_fma_f32 v212, v12, v4, v212                              // 0000000106B4: D1CB00D4 0752090C
	v_fma_f32 v213, v13, v4, v213                              // 0000000106BC: D1CB00D5 0756090D
	v_fma_f32 v214, v14, v4, v214                              // 0000000106C4: D1CB00D6 075A090E
	v_fma_f32 v215, v15, v4, v215                              // 0000000106CC: D1CB00D7 075E090F
	v_mfma_f32_16x16x32_fp8_fp8 v[12:15], a[168:169], a[112:113], 0// 0000000106D4: D3F3000C 1A02E1A8
	v_mfma_f32_16x16x32_fp8_fp8 v[12:15], a[170:171], a[114:115], v[12:15]// 0000000106DC: D3F3000C 1C32E5AA
	v_mfma_f32_16x16x32_fp8_fp8 v[12:15], a[172:173], a[116:117], v[12:15]// 0000000106E4: D3F3000C 1C32E9AC
	v_mfma_f32_16x16x32_fp8_fp8 v[12:15], a[174:175], a[118:119], v[12:15]// 0000000106EC: D3F3000C 1C32EDAE
	v_fma_f32 v180, v8, v6, v180                               // 0000000106F4: D1CB00B4 06D20D08
	v_fma_f32 v181, v9, v6, v181                               // 0000000106FC: D1CB00B5 06D60D09
	v_fma_f32 v182, v10, v6, v182                              // 000000010704: D1CB00B6 06DA0D0A
	v_fma_f32 v183, v11, v6, v183                              // 00000001070C: D1CB00B7 06DE0D0B
	v_mul_f32_dpp v4, v27, v45 row_newbcast:0 row_mask:0xf bank_mask:0xf// 000000010714: 0A085AFA FF01501B
	v_mfma_f32_16x16x32_fp8_fp8 v[8:11], a[160:161], a[120:121], 0// 00000001071C: D3F30008 1A02F1A0
	v_mfma_f32_16x16x32_fp8_fp8 v[8:11], a[162:163], a[122:123], v[8:11]// 000000010724: D3F30008 1C22F5A2
	v_mfma_f32_16x16x32_fp8_fp8 v[8:11], a[164:165], a[124:125], v[8:11]// 00000001072C: D3F30008 1C22F9A4
	v_mfma_f32_16x16x32_fp8_fp8 v[8:11], a[166:167], a[126:127], v[8:11]// 000000010734: D3F30008 1C22FDA6
	v_fma_f32 v216, v12, v6, v216                              // 00000001073C: D1CB00D8 07620D0C
	v_fma_f32 v217, v13, v6, v217                              // 000000010744: D1CB00D9 07660D0D
	v_fma_f32 v218, v14, v6, v218                              // 00000001074C: D1CB00DA 076A0D0E
	v_fma_f32 v219, v15, v6, v219                              // 000000010754: D1CB00DB 076E0D0F
	v_mfma_f32_16x16x32_fp8_fp8 v[12:15], a[168:169], a[120:121], 0// 00000001075C: D3F3000C 1A02F1A8
	v_mfma_f32_16x16x32_fp8_fp8 v[12:15], a[170:171], a[122:123], v[12:15]// 000000010764: D3F3000C 1C32F5AA
	v_mfma_f32_16x16x32_fp8_fp8 v[12:15], a[172:173], a[124:125], v[12:15]// 00000001076C: D3F3000C 1C32F9AC
	v_mfma_f32_16x16x32_fp8_fp8 v[12:15], a[174:175], a[126:127], v[12:15]// 000000010774: D3F3000C 1C32FDAE
	v_fma_f32 v184, v8, v4, v184                               // 00000001077C: D1CB00B8 06E20908
	v_fma_f32 v185, v9, v4, v185                               // 000000010784: D1CB00B9 06E60909
	v_fma_f32 v186, v10, v4, v186                              // 00000001078C: D1CB00BA 06EA090A
	v_fma_f32 v187, v11, v4, v187                              // 000000010794: D1CB00BB 06EE090B
	v_mul_f32_dpp v6, v27, v46 row_newbcast:0 row_mask:0xf bank_mask:0xf// 00000001079C: 0A0C5CFA FF01501B
	v_mfma_f32_16x16x32_fp8_fp8 v[8:11], a[160:161], a[128:129], 0// 0000000107A4: D3F30008 1A0301A0
	v_mfma_f32_16x16x32_fp8_fp8 v[8:11], a[162:163], a[130:131], v[8:11]// 0000000107AC: D3F30008 1C2305A2
	v_mfma_f32_16x16x32_fp8_fp8 v[8:11], a[164:165], a[132:133], v[8:11]// 0000000107B4: D3F30008 1C2309A4
	v_mfma_f32_16x16x32_fp8_fp8 v[8:11], a[166:167], a[134:135], v[8:11]// 0000000107BC: D3F30008 1C230DA6
	v_fma_f32 v220, v12, v4, v220                              // 0000000107C4: D1CB00DC 0772090C
	v_fma_f32 v221, v13, v4, v221                              // 0000000107CC: D1CB00DD 0776090D
	v_fma_f32 v222, v14, v4, v222                              // 0000000107D4: D1CB00DE 077A090E
	v_fma_f32 v223, v15, v4, v223                              // 0000000107DC: D1CB00DF 077E090F
	v_mfma_f32_16x16x32_fp8_fp8 v[12:15], a[168:169], a[128:129], 0// 0000000107E4: D3F3000C 1A0301A8
	v_mfma_f32_16x16x32_fp8_fp8 v[12:15], a[170:171], a[130:131], v[12:15]// 0000000107EC: D3F3000C 1C3305AA
	v_mfma_f32_16x16x32_fp8_fp8 v[12:15], a[172:173], a[132:133], v[12:15]// 0000000107F4: D3F3000C 1C3309AC
	v_mfma_f32_16x16x32_fp8_fp8 v[12:15], a[174:175], a[134:135], v[12:15]// 0000000107FC: D3F3000C 1C330DAE
	v_fma_f32 v188, v8, v6, v188                               // 000000010804: D1CB00BC 06F20D08
	v_fma_f32 v189, v9, v6, v189                               // 00000001080C: D1CB00BD 06F60D09
	v_fma_f32 v190, v10, v6, v190                              // 000000010814: D1CB00BE 06FA0D0A
	v_fma_f32 v191, v11, v6, v191                              // 00000001081C: D1CB00BF 06FE0D0B
	v_mul_f32_dpp v4, v27, v47 row_newbcast:0 row_mask:0xf bank_mask:0xf// 000000010824: 0A085EFA FF01501B
	v_mfma_f32_16x16x32_fp8_fp8 v[8:11], a[160:161], a[136:137], 0// 00000001082C: D3F30008 1A0311A0
	s_add_u32 s60, 0x180, s80                                  // 000000010834: 803C50FF 00000180
	s_cmp_lt_u32 s60, s81                                      // 00000001083C: BF0A513C
	s_cselect_b32 s57, s57, 0                                  // 000000010840: 85398039
	s_cselect_b32 s3, s3, 0                                    // 000000010844: 85038003
	v_mfma_f32_16x16x32_fp8_fp8 v[8:11], a[162:163], a[138:139], v[8:11]// 000000010848: D3F30008 1C2315A2
	s_add_u32 s60, 0x100, s80                                  // 000000010850: 803C50FF 00000100
	s_cmp_lt_u32 s60, s81                                      // 000000010858: BF0A513C
	s_cselect_b32 s58, s58, 0                                  // 00000001085C: 853A803A
	v_mfma_f32_16x16x32_fp8_fp8 v[8:11], a[164:165], a[140:141], v[8:11]// 000000010860: D3F30008 1C2319A4
	s_add_u32 s60, 0x100, s80                                  // 000000010868: 803C50FF 00000100
	s_cmp_lt_u32 s60, s81                                      // 000000010870: BF0A513C
	s_cselect_b32 s83, s83, 0                                  // 000000010874: 85538053
	s_cselect_b32 s4, s4, 0                                    // 000000010878: 85048004
	v_mfma_f32_16x16x32_fp8_fp8 v[8:11], a[166:167], a[142:143], v[8:11]// 00000001087C: D3F30008 1C231DA6
	s_add_u32 s24, s58, s24                                    // 000000010884: 8018183A
	s_addc_u32 s25, 0, s25                                     // 000000010888: 82191980
	v_fma_f32 v224, v12, v6, v224                              // 00000001088C: D1CB00E0 07820D0C
	v_fma_f32 v225, v13, v6, v225                              // 000000010894: D1CB00E1 07860D0D
	v_fma_f32 v226, v14, v6, v226                              // 00000001089C: D1CB00E2 078A0D0E
	v_fma_f32 v227, v15, v6, v227                              // 0000000108A4: D1CB00E3 078E0D0F
	v_mfma_f32_16x16x32_fp8_fp8 v[12:15], a[168:169], a[136:137], 0// 0000000108AC: D3F3000C 1A0311A8
	s_add_u32 s20, s57, s20                                    // 0000000108B4: 80141439
	s_addc_u32 s21, 0, s21                                     // 0000000108B8: 82151580
	s_add_u32 s28, s3, s28                                     // 0000000108BC: 801C1C03
	s_addc_u32 s29, 0, s29                                     // 0000000108C0: 821D1D80
	v_mfma_f32_16x16x32_fp8_fp8 v[12:15], a[170:171], a[138:139], v[12:15]// 0000000108C4: D3F3000C 1C3315AA
	s_add_u32 s84, s83, s84                                    // 0000000108CC: 80545453
	s_addc_u32 s85, 0, s85                                     // 0000000108D0: 82555580
	v_mfma_f32_16x16x32_fp8_fp8 v[12:15], a[172:173], a[140:141], v[12:15]// 0000000108D4: D3F3000C 1C3319AC
	s_add_u32 s32, s4, s32                                     // 0000000108DC: 80202004
	s_addc_u32 s33, 0, s33                                     // 0000000108E0: 82212180
	v_mfma_f32_16x16x32_fp8_fp8 v[12:15], a[174:175], a[142:143], v[12:15]// 0000000108E4: D3F3000C 1C331DAE
	v_fma_f32 v192, v8, v4, v192                               // 0000000108EC: D1CB00C0 07020908
	v_fma_f32 v193, v9, v4, v193                               // 0000000108F4: D1CB00C1 07060909
	v_fma_f32 v194, v10, v4, v194                              // 0000000108FC: D1CB00C2 070A090A
	v_fma_f32 v195, v11, v4, v195                              // 000000010904: D1CB00C3 070E090B
	v_fma_f32 v228, v12, v4, v228                              // 00000001090C: D1CB00E4 0792090C
	v_fma_f32 v229, v13, v4, v229                              // 000000010914: D1CB00E5 0796090D
	v_fma_f32 v230, v14, v4, v230                              // 00000001091C: D1CB00E6 079A090E
	v_fma_f32 v231, v15, v4, v231                              // 000000010924: D1CB00E7 079E090F
	s_addk_i32 s80, 0x80                                       // 00000001092C: B7500080
	s_cmp_lt_i32 s80, s81                                      // 000000010930: BF045150
	s_cbranch_scc0 label_3DF8                                  // 000000010934: BF840627
	s_waitcnt vmcnt(32) lgkmcnt(0)                             // 000000010938: BF8C8070
	v_mul_f32_dpp v4, v25, v48 row_newbcast:0 row_mask:0xf bank_mask:0xf// 00000001093C: 0A0860FA FF015019
	v_mfma_f32_16x16x32_fp8_fp8 v[8:11], a[176:177], a[0:1], 0 // 000000010944: D3F30008 1A0201B0
	buffer_load_dword v26, v22, s[32:35], 0 offen              // 00000001094C: E0501000 80081A16
	buffer_load_dwordx4 a[160:163], v84, s[24:27], 0 offen     // 000000010954: E05C1000 8086A054
	v_mfma_f32_16x16x32_fp8_fp8 v[8:11], a[178:179], a[2:3], v[8:11]// 00000001095C: D3F30008 1C2205B2
	v_mfma_f32_16x16x32_fp8_fp8 v[8:11], a[180:181], a[4:5], v[8:11]// 000000010964: D3F30008 1C2209B4
	v_mfma_f32_16x16x32_fp8_fp8 v[8:11], a[182:183], a[6:7], v[8:11]// 00000001096C: D3F30008 1C220DB6
	v_mfma_f32_16x16x32_fp8_fp8 v[12:15], a[184:185], a[0:1], 0// 000000010974: D3F3000C 1A0201B8
	buffer_load_dwordx4 a[164:167], v84, s[24:27], 0 offen offset:1024// 00000001097C: E05C1400 8086A454
	v_mfma_f32_16x16x32_fp8_fp8 v[12:15], a[186:187], a[2:3], v[12:15]// 000000010984: D3F3000C 1C3205BA
	v_mfma_f32_16x16x32_fp8_fp8 v[12:15], a[188:189], a[4:5], v[12:15]// 00000001098C: D3F3000C 1C3209BC
	v_mfma_f32_16x16x32_fp8_fp8 v[12:15], a[190:191], a[6:7], v[12:15]// 000000010994: D3F3000C 1C320DBE
	v_fma_f32 v88, v8, v4, v88                                 // 00000001099C: D1CB0058 05620908
	v_fma_f32 v89, v9, v4, v89                                 // 0000000109A4: D1CB0059 05660909
	v_fma_f32 v90, v10, v4, v90                                // 0000000109AC: D1CB005A 056A090A
	v_fma_f32 v91, v11, v4, v91                                // 0000000109B4: D1CB005B 056E090B
	v_mul_f32_dpp v6, v25, v49 row_newbcast:0 row_mask:0xf bank_mask:0xf// 0000000109BC: 0A0C62FA FF015019
	v_mfma_f32_16x16x32_fp8_fp8 v[8:11], a[176:177], a[8:9], 0 // 0000000109C4: D3F30008 1A0211B0
	buffer_load_dwordx4 a[168:171], v85, s[24:27], 0 offen     // 0000000109CC: E05C1000 8086A855
	v_mfma_f32_16x16x32_fp8_fp8 v[8:11], a[178:179], a[10:11], v[8:11]// 0000000109D4: D3F30008 1C2215B2
	v_mfma_f32_16x16x32_fp8_fp8 v[8:11], a[180:181], a[12:13], v[8:11]// 0000000109DC: D3F30008 1C2219B4
	v_mfma_f32_16x16x32_fp8_fp8 v[8:11], a[182:183], a[14:15], v[8:11]// 0000000109E4: D3F30008 1C221DB6
	v_fma_f32 v124, v12, v4, v124                              // 0000000109EC: D1CB007C 05F2090C
	v_fma_f32 v125, v13, v4, v125                              // 0000000109F4: D1CB007D 05F6090D
	v_fma_f32 v126, v14, v4, v126                              // 0000000109FC: D1CB007E 05FA090E
	v_fma_f32 v127, v15, v4, v127                              // 000000010A04: D1CB007F 05FE090F
	v_mfma_f32_16x16x32_fp8_fp8 v[12:15], a[184:185], a[8:9], 0// 000000010A0C: D3F3000C 1A0211B8
	buffer_load_dwordx4 a[172:175], v85, s[24:27], 0 offen offset:1024// 000000010A14: E05C1400 8086AC55
	buffer_load_dword v66, s[20:23], 0 offen lds               // 000000010A1C: E0511000 80050042
	s_add_u32 m0, 0x100, s48                                   // 000000010A24: 807C30FF 00000100
	v_mfma_f32_16x16x32_fp8_fp8 v[12:15], a[186:187], a[10:11], v[12:15]// 000000010A2C: D3F3000C 1C3215BA
	v_mfma_f32_16x16x32_fp8_fp8 v[12:15], a[188:189], a[12:13], v[12:15]// 000000010A34: D3F3000C 1C3219BC
	buffer_load_dword v67, s[20:23], 0 offen lds               // 000000010A3C: E0511000 80050043
	s_add_u32 m0, 0x200, s48                                   // 000000010A44: 807C30FF 00000200
	v_mfma_f32_16x16x32_fp8_fp8 v[12:15], a[190:191], a[14:15], v[12:15]// 000000010A4C: D3F3000C 1C321DBE
	v_fma_f32 v92, v8, v6, v92                                 // 000000010A54: D1CB005C 05720D08
	v_fma_f32 v93, v9, v6, v93                                 // 000000010A5C: D1CB005D 05760D09
	v_fma_f32 v94, v10, v6, v94                                // 000000010A64: D1CB005E 057A0D0A
	v_fma_f32 v95, v11, v6, v95                                // 000000010A6C: D1CB005F 057E0D0B
	v_mul_f32_dpp v4, v25, v50 row_newbcast:0 row_mask:0xf bank_mask:0xf// 000000010A74: 0A0864FA FF015019
	v_mfma_f32_16x16x32_fp8_fp8 v[8:11], a[176:177], a[16:17], 0// 000000010A7C: D3F30008 1A0221B0
	buffer_load_dword v68, s[20:23], 0 offen lds               // 000000010A84: E0511000 80050044
	s_add_u32 m0, 0x300, s48                                   // 000000010A8C: 807C30FF 00000300
	v_mfma_f32_16x16x32_fp8_fp8 v[8:11], a[178:179], a[18:19], v[8:11]// 000000010A94: D3F30008 1C2225B2
	v_mfma_f32_16x16x32_fp8_fp8 v[8:11], a[180:181], a[20:21], v[8:11]// 000000010A9C: D3F30008 1C2229B4
	buffer_load_dword v69, s[20:23], 0 offen lds               // 000000010AA4: E0511000 80050045
	s_add_u32 m0, 0x400, s48                                   // 000000010AAC: 807C30FF 00000400
	v_mfma_f32_16x16x32_fp8_fp8 v[8:11], a[182:183], a[22:23], v[8:11]// 000000010AB4: D3F30008 1C222DB6
	v_fma_f32 v128, v12, v6, v128                              // 000000010ABC: D1CB0080 06020D0C
	v_fma_f32 v129, v13, v6, v129                              // 000000010AC4: D1CB0081 06060D0D
	v_fma_f32 v130, v14, v6, v130                              // 000000010ACC: D1CB0082 060A0D0E
	v_fma_f32 v131, v15, v6, v131                              // 000000010AD4: D1CB0083 060E0D0F
	v_mfma_f32_16x16x32_fp8_fp8 v[12:15], a[184:185], a[16:17], 0// 000000010ADC: D3F3000C 1A0221B8
	buffer_load_dword v70, s[20:23], 0 offen lds               // 000000010AE4: E0511000 80050046
	s_add_u32 m0, 0x500, s48                                   // 000000010AEC: 807C30FF 00000500
	v_mfma_f32_16x16x32_fp8_fp8 v[12:15], a[186:187], a[18:19], v[12:15]// 000000010AF4: D3F3000C 1C3225BA
	v_mfma_f32_16x16x32_fp8_fp8 v[12:15], a[188:189], a[20:21], v[12:15]// 000000010AFC: D3F3000C 1C3229BC
	buffer_load_dword v71, s[20:23], 0 offen lds               // 000000010B04: E0511000 80050047
	s_add_u32 m0, 0x600, s48                                   // 000000010B0C: 807C30FF 00000600
	v_mfma_f32_16x16x32_fp8_fp8 v[12:15], a[190:191], a[22:23], v[12:15]// 000000010B14: D3F3000C 1C322DBE
	v_fma_f32 v96, v8, v4, v96                                 // 000000010B1C: D1CB0060 05820908
	v_fma_f32 v97, v9, v4, v97                                 // 000000010B24: D1CB0061 05860909
	v_fma_f32 v98, v10, v4, v98                                // 000000010B2C: D1CB0062 058A090A
	v_fma_f32 v99, v11, v4, v99                                // 000000010B34: D1CB0063 058E090B
	v_mul_f32_dpp v6, v25, v51 row_newbcast:0 row_mask:0xf bank_mask:0xf// 000000010B3C: 0A0C66FA FF015019
	v_mfma_f32_16x16x32_fp8_fp8 v[8:11], a[176:177], a[24:25], 0// 000000010B44: D3F30008 1A0231B0
	buffer_load_dword v72, s[20:23], 0 offen lds               // 000000010B4C: E0511000 80050048
	s_add_u32 m0, 0x700, s48                                   // 000000010B54: 807C30FF 00000700
	v_mfma_f32_16x16x32_fp8_fp8 v[8:11], a[178:179], a[26:27], v[8:11]// 000000010B5C: D3F30008 1C2235B2
	v_mfma_f32_16x16x32_fp8_fp8 v[8:11], a[180:181], a[28:29], v[8:11]// 000000010B64: D3F30008 1C2239B4
	buffer_load_dword v73, s[20:23], 0 offen lds               // 000000010B6C: E0511000 80050049
	s_add_u32 m0, 0x800, s48                                   // 000000010B74: 807C30FF 00000800
	v_mfma_f32_16x16x32_fp8_fp8 v[8:11], a[182:183], a[30:31], v[8:11]// 000000010B7C: D3F30008 1C223DB6
	v_fma_f32 v132, v12, v4, v132                              // 000000010B84: D1CB0084 0612090C
	v_fma_f32 v133, v13, v4, v133                              // 000000010B8C: D1CB0085 0616090D
	v_fma_f32 v134, v14, v4, v134                              // 000000010B94: D1CB0086 061A090E
	v_fma_f32 v135, v15, v4, v135                              // 000000010B9C: D1CB0087 061E090F
	v_mfma_f32_16x16x32_fp8_fp8 v[12:15], a[184:185], a[24:25], 0// 000000010BA4: D3F3000C 1A0231B8
	buffer_load_dword v74, s[20:23], 0 offen lds               // 000000010BAC: E0511000 8005004A
	s_add_u32 m0, 0x900, s48                                   // 000000010BB4: 807C30FF 00000900
	v_mfma_f32_16x16x32_fp8_fp8 v[12:15], a[186:187], a[26:27], v[12:15]// 000000010BBC: D3F3000C 1C3235BA
	v_mfma_f32_16x16x32_fp8_fp8 v[12:15], a[188:189], a[28:29], v[12:15]// 000000010BC4: D3F3000C 1C3239BC
	buffer_load_dword v75, s[20:23], 0 offen lds               // 000000010BCC: E0511000 8005004B
	s_add_u32 m0, 0xa00, s48                                   // 000000010BD4: 807C30FF 00000A00
	v_mfma_f32_16x16x32_fp8_fp8 v[12:15], a[190:191], a[30:31], v[12:15]// 000000010BDC: D3F3000C 1C323DBE
	v_fma_f32 v100, v8, v6, v100                               // 000000010BE4: D1CB0064 05920D08
	v_fma_f32 v101, v9, v6, v101                               // 000000010BEC: D1CB0065 05960D09
	v_fma_f32 v102, v10, v6, v102                              // 000000010BF4: D1CB0066 059A0D0A
	v_fma_f32 v103, v11, v6, v103                              // 000000010BFC: D1CB0067 059E0D0B
	v_mul_f32_dpp v4, v25, v52 row_newbcast:0 row_mask:0xf bank_mask:0xf// 000000010C04: 0A0868FA FF015019
	v_mfma_f32_16x16x32_fp8_fp8 v[8:11], a[176:177], a[32:33], 0// 000000010C0C: D3F30008 1A0241B0
	buffer_load_dword v76, s[20:23], 0 offen lds               // 000000010C14: E0511000 8005004C
	s_add_u32 m0, 0xb00, s48                                   // 000000010C1C: 807C30FF 00000B00
	v_mfma_f32_16x16x32_fp8_fp8 v[8:11], a[178:179], a[34:35], v[8:11]// 000000010C24: D3F30008 1C2245B2
	v_mfma_f32_16x16x32_fp8_fp8 v[8:11], a[180:181], a[36:37], v[8:11]// 000000010C2C: D3F30008 1C2249B4
	buffer_load_dword v77, s[20:23], 0 offen lds               // 000000010C34: E0511000 8005004D
	s_add_u32 m0, 0xc00, s48                                   // 000000010C3C: 807C30FF 00000C00
	v_mfma_f32_16x16x32_fp8_fp8 v[8:11], a[182:183], a[38:39], v[8:11]// 000000010C44: D3F30008 1C224DB6
	v_fma_f32 v136, v12, v6, v136                              // 000000010C4C: D1CB0088 06220D0C
	v_fma_f32 v137, v13, v6, v137                              // 000000010C54: D1CB0089 06260D0D
	v_fma_f32 v138, v14, v6, v138                              // 000000010C5C: D1CB008A 062A0D0E
	v_fma_f32 v139, v15, v6, v139                              // 000000010C64: D1CB008B 062E0D0F
	v_mfma_f32_16x16x32_fp8_fp8 v[12:15], a[184:185], a[32:33], 0// 000000010C6C: D3F3000C 1A0241B8
	buffer_load_dword v78, s[20:23], 0 offen lds               // 000000010C74: E0511000 8005004E
	s_add_u32 m0, 0xd00, s48                                   // 000000010C7C: 807C30FF 00000D00
	v_mfma_f32_16x16x32_fp8_fp8 v[12:15], a[186:187], a[34:35], v[12:15]// 000000010C84: D3F3000C 1C3245BA
	v_mfma_f32_16x16x32_fp8_fp8 v[12:15], a[188:189], a[36:37], v[12:15]// 000000010C8C: D3F3000C 1C3249BC
	buffer_load_dword v79, s[20:23], 0 offen lds               // 000000010C94: E0511000 8005004F
	s_add_u32 m0, 0xe00, s48                                   // 000000010C9C: 807C30FF 00000E00
	v_mfma_f32_16x16x32_fp8_fp8 v[12:15], a[190:191], a[38:39], v[12:15]// 000000010CA4: D3F3000C 1C324DBE
	v_fma_f32 v104, v8, v4, v104                               // 000000010CAC: D1CB0068 05A20908
	v_fma_f32 v105, v9, v4, v105                               // 000000010CB4: D1CB0069 05A60909
	v_fma_f32 v106, v10, v4, v106                              // 000000010CBC: D1CB006A 05AA090A
	v_fma_f32 v107, v11, v4, v107                              // 000000010CC4: D1CB006B 05AE090B
	v_mul_f32_dpp v6, v25, v53 row_newbcast:0 row_mask:0xf bank_mask:0xf// 000000010CCC: 0A0C6AFA FF015019
	v_mfma_f32_16x16x32_fp8_fp8 v[8:11], a[176:177], a[40:41], 0// 000000010CD4: D3F30008 1A0251B0
	buffer_load_dword v80, s[20:23], 0 offen lds               // 000000010CDC: E0511000 80050050
	s_add_u32 m0, 0xf00, s48                                   // 000000010CE4: 807C30FF 00000F00
	v_mfma_f32_16x16x32_fp8_fp8 v[8:11], a[178:179], a[42:43], v[8:11]// 000000010CEC: D3F30008 1C2255B2
	v_mfma_f32_16x16x32_fp8_fp8 v[8:11], a[180:181], a[44:45], v[8:11]// 000000010CF4: D3F30008 1C2259B4
	buffer_load_dword v81, s[20:23], 0 offen lds               // 000000010CFC: E0511000 80050051
	s_add_u32 m0, 0x1000, s48                                  // 000000010D04: 807C30FF 00001000
	v_mfma_f32_16x16x32_fp8_fp8 v[8:11], a[182:183], a[46:47], v[8:11]// 000000010D0C: D3F30008 1C225DB6
	v_fma_f32 v140, v12, v4, v140                              // 000000010D14: D1CB008C 0632090C
	v_fma_f32 v141, v13, v4, v141                              // 000000010D1C: D1CB008D 0636090D
	v_fma_f32 v142, v14, v4, v142                              // 000000010D24: D1CB008E 063A090E
	v_fma_f32 v143, v15, v4, v143                              // 000000010D2C: D1CB008F 063E090F
	v_mfma_f32_16x16x32_fp8_fp8 v[12:15], a[184:185], a[40:41], 0// 000000010D34: D3F3000C 1A0251B8
	buffer_load_dword v82, s[20:23], 0 offen lds               // 000000010D3C: E0511000 80050052
	s_add_u32 m0, 0x1100, s48                                  // 000000010D44: 807C30FF 00001100
	v_mfma_f32_16x16x32_fp8_fp8 v[12:15], a[186:187], a[42:43], v[12:15]// 000000010D4C: D3F3000C 1C3255BA
	v_mfma_f32_16x16x32_fp8_fp8 v[12:15], a[188:189], a[44:45], v[12:15]// 000000010D54: D3F3000C 1C3259BC
	buffer_load_dword v83, s[20:23], 0 offen lds               // 000000010D5C: E0511000 80050053
	s_add_u32 m0, 0, s49                                       // 000000010D64: 807C3180
	v_mfma_f32_16x16x32_fp8_fp8 v[12:15], a[190:191], a[46:47], v[12:15]// 000000010D68: D3F3000C 1C325DBE
	v_fma_f32 v108, v8, v6, v108                               // 000000010D70: D1CB006C 05B20D08
	v_fma_f32 v109, v9, v6, v109                               // 000000010D78: D1CB006D 05B60D09
	v_fma_f32 v110, v10, v6, v110                              // 000000010D80: D1CB006E 05BA0D0A
	v_fma_f32 v111, v11, v6, v111                              // 000000010D88: D1CB006F 05BE0D0B
	v_mul_f32_dpp v4, v25, v54 row_newbcast:0 row_mask:0xf bank_mask:0xf// 000000010D90: 0A086CFA FF015019
	v_mfma_f32_16x16x32_fp8_fp8 v[8:11], a[176:177], a[48:49], 0// 000000010D98: D3F30008 1A0261B0
	buffer_load_dword v39, v30, s[28:31], 0 offen              // 000000010DA0: E0501000 8007271E
	v_mfma_f32_16x16x32_fp8_fp8 v[8:11], a[178:179], a[50:51], v[8:11]// 000000010DA8: D3F30008 1C2265B2
	v_mfma_f32_16x16x32_fp8_fp8 v[8:11], a[180:181], a[52:53], v[8:11]// 000000010DB0: D3F30008 1C2269B4
	buffer_load_dword v40, v31, s[28:31], 0 offen              // 000000010DB8: E0501000 8007281F
	v_mfma_f32_16x16x32_fp8_fp8 v[8:11], a[182:183], a[54:55], v[8:11]// 000000010DC0: D3F30008 1C226DB6
	v_fma_f32 v144, v12, v6, v144                              // 000000010DC8: D1CB0090 06420D0C
	v_fma_f32 v145, v13, v6, v145                              // 000000010DD0: D1CB0091 06460D0D
	v_fma_f32 v146, v14, v6, v146                              // 000000010DD8: D1CB0092 064A0D0E
	v_fma_f32 v147, v15, v6, v147                              // 000000010DE0: D1CB0093 064E0D0F
	v_mfma_f32_16x16x32_fp8_fp8 v[12:15], a[184:185], a[48:49], 0// 000000010DE8: D3F3000C 1A0261B8
	buffer_load_dword v41, v32, s[28:31], 0 offen              // 000000010DF0: E0501000 80072920
	v_mfma_f32_16x16x32_fp8_fp8 v[12:15], a[186:187], a[50:51], v[12:15]// 000000010DF8: D3F3000C 1C3265BA
	v_mfma_f32_16x16x32_fp8_fp8 v[12:15], a[188:189], a[52:53], v[12:15]// 000000010E00: D3F3000C 1C3269BC
	buffer_load_dword v42, v33, s[28:31], 0 offen              // 000000010E08: E0501000 80072A21
	v_mfma_f32_16x16x32_fp8_fp8 v[12:15], a[190:191], a[54:55], v[12:15]// 000000010E10: D3F3000C 1C326DBE
	v_fma_f32 v112, v8, v4, v112                               // 000000010E18: D1CB0070 05C20908
	v_fma_f32 v113, v9, v4, v113                               // 000000010E20: D1CB0071 05C60909
	v_fma_f32 v114, v10, v4, v114                              // 000000010E28: D1CB0072 05CA090A
	v_fma_f32 v115, v11, v4, v115                              // 000000010E30: D1CB0073 05CE090B
	v_mul_f32_dpp v6, v25, v55 row_newbcast:0 row_mask:0xf bank_mask:0xf// 000000010E38: 0A0C6EFA FF015019
	v_mfma_f32_16x16x32_fp8_fp8 v[8:11], a[176:177], a[56:57], 0// 000000010E40: D3F30008 1A0271B0
	buffer_load_dword v43, v34, s[28:31], 0 offen              // 000000010E48: E0501000 80072B22
	v_mfma_f32_16x16x32_fp8_fp8 v[8:11], a[178:179], a[58:59], v[8:11]// 000000010E50: D3F30008 1C2275B2
	v_mfma_f32_16x16x32_fp8_fp8 v[8:11], a[180:181], a[60:61], v[8:11]// 000000010E58: D3F30008 1C2279B4
	buffer_load_dword v44, v35, s[28:31], 0 offen              // 000000010E60: E0501000 80072C23
	v_mfma_f32_16x16x32_fp8_fp8 v[8:11], a[182:183], a[62:63], v[8:11]// 000000010E68: D3F30008 1C227DB6
	v_fma_f32 v148, v12, v4, v148                              // 000000010E70: D1CB0094 0652090C
	v_fma_f32 v149, v13, v4, v149                              // 000000010E78: D1CB0095 0656090D
	v_fma_f32 v150, v14, v4, v150                              // 000000010E80: D1CB0096 065A090E
	v_fma_f32 v151, v15, v4, v151                              // 000000010E88: D1CB0097 065E090F
	v_mfma_f32_16x16x32_fp8_fp8 v[12:15], a[184:185], a[56:57], 0// 000000010E90: D3F3000C 1A0271B8
	buffer_load_dword v45, v36, s[28:31], 0 offen              // 000000010E98: E0501000 80072D24
	v_mfma_f32_16x16x32_fp8_fp8 v[12:15], a[186:187], a[58:59], v[12:15]// 000000010EA0: D3F3000C 1C3275BA
	v_mfma_f32_16x16x32_fp8_fp8 v[12:15], a[188:189], a[60:61], v[12:15]// 000000010EA8: D3F3000C 1C3279BC
	buffer_load_dword v46, v37, s[28:31], 0 offen              // 000000010EB0: E0501000 80072E25
	v_mfma_f32_16x16x32_fp8_fp8 v[12:15], a[190:191], a[62:63], v[12:15]// 000000010EB8: D3F3000C 1C327DBE
	v_fma_f32 v116, v8, v6, v116                               // 000000010EC0: D1CB0074 05D20D08
	v_fma_f32 v117, v9, v6, v117                               // 000000010EC8: D1CB0075 05D60D09
	v_fma_f32 v118, v10, v6, v118                              // 000000010ED0: D1CB0076 05DA0D0A
	v_fma_f32 v119, v11, v6, v119                              // 000000010ED8: D1CB0077 05DE0D0B
	v_mul_f32_dpp v4, v25, v56 row_newbcast:0 row_mask:0xf bank_mask:0xf// 000000010EE0: 0A0870FA FF015019
	v_mfma_f32_16x16x32_fp8_fp8 v[8:11], a[176:177], a[64:65], 0// 000000010EE8: D3F30008 1A0281B0
	buffer_load_dword v47, v38, s[28:31], 0 offen              // 000000010EF0: E0501000 80072F26
	v_mfma_f32_16x16x32_fp8_fp8 v[8:11], a[178:179], a[66:67], v[8:11]// 000000010EF8: D3F30008 1C2285B2
	v_mfma_f32_16x16x32_fp8_fp8 v[8:11], a[180:181], a[68:69], v[8:11]// 000000010F00: D3F30008 1C2289B4
	v_mfma_f32_16x16x32_fp8_fp8 v[8:11], a[182:183], a[70:71], v[8:11]// 000000010F08: D3F30008 1C228DB6
	v_fma_f32 v152, v12, v6, v152                              // 000000010F10: D1CB0098 06620D0C
	v_fma_f32 v153, v13, v6, v153                              // 000000010F18: D1CB0099 06660D0D
	v_fma_f32 v154, v14, v6, v154                              // 000000010F20: D1CB009A 066A0D0E
	v_fma_f32 v155, v15, v6, v155                              // 000000010F28: D1CB009B 066E0D0F
	v_mfma_f32_16x16x32_fp8_fp8 v[12:15], a[184:185], a[64:65], 0// 000000010F30: D3F3000C 1A0281B8
	v_mfma_f32_16x16x32_fp8_fp8 v[12:15], a[186:187], a[66:67], v[12:15]// 000000010F38: D3F3000C 1C3285BA
	v_mfma_f32_16x16x32_fp8_fp8 v[12:15], a[188:189], a[68:69], v[12:15]// 000000010F40: D3F3000C 1C3289BC
	v_mfma_f32_16x16x32_fp8_fp8 v[12:15], a[190:191], a[70:71], v[12:15]// 000000010F48: D3F3000C 1C328DBE
	v_fma_f32 v120, v8, v4, v120                               // 000000010F50: D1CB0078 05E20908
	v_fma_f32 v121, v9, v4, v121                               // 000000010F58: D1CB0079 05E60909
	v_fma_f32 v122, v10, v4, v122                              // 000000010F60: D1CB007A 05EA090A
	v_fma_f32 v123, v11, v4, v123                              // 000000010F68: D1CB007B 05EE090B
	v_fma_f32 v156, v12, v4, v156                              // 000000010F70: D1CB009C 0672090C
	v_fma_f32 v157, v13, v4, v157                              // 000000010F78: D1CB009D 0676090D
	v_fma_f32 v158, v14, v4, v158                              // 000000010F80: D1CB009E 067A090E
	v_fma_f32 v159, v15, v4, v159                              // 000000010F88: D1CB009F 067E090F
	s_waitcnt vmcnt(32)                                        // 000000010F90: BF8C8F70
	s_barrier                                                  // 000000010F94: BF8A0000
	v_mul_f32_dpp v4, v28, v48 row_newbcast:0 row_mask:0xf bank_mask:0xf// 000000010F98: 0A0860FA FF01501C
	v_mfma_f32_16x16x32_fp8_fp8 v[8:11], a[144:145], a[0:1], 0 // 000000010FA0: D3F30008 1A020190
	buffer_load_dword v29, v23, s[32:35], 0 offen              // 000000010FA8: E0501000 80081D17
	buffer_load_dwordx4 a[176:179], v84, s[84:87], 0 offen     // 000000010FB0: E05C1000 8095B054
	v_mfma_f32_16x16x32_fp8_fp8 v[8:11], a[146:147], a[2:3], v[8:11]// 000000010FB8: D3F30008 1C220592
	v_mfma_f32_16x16x32_fp8_fp8 v[8:11], a[148:149], a[4:5], v[8:11]// 000000010FC0: D3F30008 1C220994
	ds_read_b128 a[72:75], v2 offset:37120                     // 000000010FC8: DBFE9100 48000002
	ds_read_b128 a[76:79], v2 offset:37184                     // 000000010FD0: DBFE9140 4C000002
	v_mfma_f32_16x16x32_fp8_fp8 v[8:11], a[150:151], a[6:7], v[8:11]// 000000010FD8: D3F30008 1C220D96
	v_mfma_f32_16x16x32_fp8_fp8 v[12:15], a[152:153], a[0:1], 0// 000000010FE0: D3F3000C 1A020198
	buffer_load_dwordx4 a[180:183], v84, s[84:87], 0 offen offset:1024// 000000010FE8: E05C1400 8095B454
	v_mfma_f32_16x16x32_fp8_fp8 v[12:15], a[154:155], a[2:3], v[12:15]// 000000010FF0: D3F3000C 1C32059A
	v_mfma_f32_16x16x32_fp8_fp8 v[12:15], a[156:157], a[4:5], v[12:15]// 000000010FF8: D3F3000C 1C32099C
	ds_read_b128 a[80:83], v2 offset:37632                     // 000000011000: DBFE9300 50000002
	ds_read_b128 a[84:87], v2 offset:37696                     // 000000011008: DBFE9340 54000002
	v_mfma_f32_16x16x32_fp8_fp8 v[12:15], a[158:159], a[6:7], v[12:15]// 000000011010: D3F3000C 1C320D9E
	v_fma_f32 v160, v8, v4, v160                               // 000000011018: D1CB00A0 06820908
	v_fma_f32 v161, v9, v4, v161                               // 000000011020: D1CB00A1 06860909
	v_fma_f32 v162, v10, v4, v162                              // 000000011028: D1CB00A2 068A090A
	v_fma_f32 v163, v11, v4, v163                              // 000000011030: D1CB00A3 068E090B
	v_mul_f32_dpp v6, v28, v49 row_newbcast:0 row_mask:0xf bank_mask:0xf// 000000011038: 0A0C62FA FF01501C
	v_mfma_f32_16x16x32_fp8_fp8 v[8:11], a[144:145], a[8:9], 0 // 000000011040: D3F30008 1A021190
	buffer_load_dwordx4 a[184:187], v85, s[84:87], 0 offen     // 000000011048: E05C1000 8095B855
	v_mfma_f32_16x16x32_fp8_fp8 v[8:11], a[146:147], a[10:11], v[8:11]// 000000011050: D3F30008 1C221592
	v_mfma_f32_16x16x32_fp8_fp8 v[8:11], a[148:149], a[12:13], v[8:11]// 000000011058: D3F30008 1C221994
	ds_read_b128 a[88:91], v2 offset:38144                     // 000000011060: DBFE9500 58000002
	ds_read_b128 a[92:95], v2 offset:38208                     // 000000011068: DBFE9540 5C000002
	v_mfma_f32_16x16x32_fp8_fp8 v[8:11], a[150:151], a[14:15], v[8:11]// 000000011070: D3F30008 1C221D96
	v_fma_f32 v196, v12, v4, v196                              // 000000011078: D1CB00C4 0712090C
	v_fma_f32 v197, v13, v4, v197                              // 000000011080: D1CB00C5 0716090D
	v_fma_f32 v198, v14, v4, v198                              // 000000011088: D1CB00C6 071A090E
	v_fma_f32 v199, v15, v4, v199                              // 000000011090: D1CB00C7 071E090F
	v_mfma_f32_16x16x32_fp8_fp8 v[12:15], a[152:153], a[8:9], 0// 000000011098: D3F3000C 1A021198
	buffer_load_dwordx4 a[188:191], v85, s[84:87], 0 offen offset:1024// 0000000110A0: E05C1400 8095BC55
	v_mfma_f32_16x16x32_fp8_fp8 v[12:15], a[154:155], a[10:11], v[12:15]// 0000000110A8: D3F3000C 1C32159A
	v_mfma_f32_16x16x32_fp8_fp8 v[12:15], a[156:157], a[12:13], v[12:15]// 0000000110B0: D3F3000C 1C32199C
	ds_read_b128 a[96:99], v2 offset:38656                     // 0000000110B8: DBFE9700 60000002
	ds_read_b128 a[100:103], v2 offset:38720                   // 0000000110C0: DBFE9740 64000002
	v_mfma_f32_16x16x32_fp8_fp8 v[12:15], a[158:159], a[14:15], v[12:15]// 0000000110C8: D3F3000C 1C321D9E
	v_fma_f32 v164, v8, v6, v164                               // 0000000110D0: D1CB00A4 06920D08
	v_fma_f32 v165, v9, v6, v165                               // 0000000110D8: D1CB00A5 06960D09
	v_fma_f32 v166, v10, v6, v166                              // 0000000110E0: D1CB00A6 069A0D0A
	v_fma_f32 v167, v11, v6, v167                              // 0000000110E8: D1CB00A7 069E0D0B
	v_mul_f32_dpp v4, v28, v50 row_newbcast:0 row_mask:0xf bank_mask:0xf// 0000000110F0: 0A0864FA FF01501C
	v_mfma_f32_16x16x32_fp8_fp8 v[8:11], a[144:145], a[16:17], 0// 0000000110F8: D3F30008 1A022190
	v_mfma_f32_16x16x32_fp8_fp8 v[8:11], a[146:147], a[18:19], v[8:11]// 000000011100: D3F30008 1C222592
	v_mfma_f32_16x16x32_fp8_fp8 v[8:11], a[148:149], a[20:21], v[8:11]// 000000011108: D3F30008 1C222994
	ds_read_b128 a[104:107], v2 offset:39168                   // 000000011110: DBFE9900 68000002
	ds_read_b128 a[108:111], v2 offset:39232                   // 000000011118: DBFE9940 6C000002
	v_mfma_f32_16x16x32_fp8_fp8 v[8:11], a[150:151], a[22:23], v[8:11]// 000000011120: D3F30008 1C222D96
	v_fma_f32 v200, v12, v6, v200                              // 000000011128: D1CB00C8 07220D0C
	v_fma_f32 v201, v13, v6, v201                              // 000000011130: D1CB00C9 07260D0D
	v_fma_f32 v202, v14, v6, v202                              // 000000011138: D1CB00CA 072A0D0E
	v_fma_f32 v203, v15, v6, v203                              // 000000011140: D1CB00CB 072E0D0F
	v_mfma_f32_16x16x32_fp8_fp8 v[12:15], a[152:153], a[16:17], 0// 000000011148: D3F3000C 1A022198
	v_mfma_f32_16x16x32_fp8_fp8 v[12:15], a[154:155], a[18:19], v[12:15]// 000000011150: D3F3000C 1C32259A
	v_mfma_f32_16x16x32_fp8_fp8 v[12:15], a[156:157], a[20:21], v[12:15]// 000000011158: D3F3000C 1C32299C
	ds_read_b128 a[112:115], v2 offset:39680                   // 000000011160: DBFE9B00 70000002
	ds_read_b128 a[116:119], v2 offset:39744                   // 000000011168: DBFE9B40 74000002
	v_mfma_f32_16x16x32_fp8_fp8 v[12:15], a[158:159], a[22:23], v[12:15]// 000000011170: D3F3000C 1C322D9E
	v_fma_f32 v168, v8, v4, v168                               // 000000011178: D1CB00A8 06A20908
	v_fma_f32 v169, v9, v4, v169                               // 000000011180: D1CB00A9 06A60909
	v_fma_f32 v170, v10, v4, v170                              // 000000011188: D1CB00AA 06AA090A
	v_fma_f32 v171, v11, v4, v171                              // 000000011190: D1CB00AB 06AE090B
	v_mul_f32_dpp v6, v28, v51 row_newbcast:0 row_mask:0xf bank_mask:0xf// 000000011198: 0A0C66FA FF01501C
	v_mfma_f32_16x16x32_fp8_fp8 v[8:11], a[144:145], a[24:25], 0// 0000000111A0: D3F30008 1A023190
	v_mfma_f32_16x16x32_fp8_fp8 v[8:11], a[146:147], a[26:27], v[8:11]// 0000000111A8: D3F30008 1C223592
	v_mfma_f32_16x16x32_fp8_fp8 v[8:11], a[148:149], a[28:29], v[8:11]// 0000000111B0: D3F30008 1C223994
	ds_read_b128 a[120:123], v2 offset:40192                   // 0000000111B8: DBFE9D00 78000002
	ds_read_b128 a[124:127], v2 offset:40256                   // 0000000111C0: DBFE9D40 7C000002
	v_mfma_f32_16x16x32_fp8_fp8 v[8:11], a[150:151], a[30:31], v[8:11]// 0000000111C8: D3F30008 1C223D96
	v_fma_f32 v204, v12, v4, v204                              // 0000000111D0: D1CB00CC 0732090C
	v_fma_f32 v205, v13, v4, v205                              // 0000000111D8: D1CB00CD 0736090D
	v_fma_f32 v206, v14, v4, v206                              // 0000000111E0: D1CB00CE 073A090E
	v_fma_f32 v207, v15, v4, v207                              // 0000000111E8: D1CB00CF 073E090F
	v_mfma_f32_16x16x32_fp8_fp8 v[12:15], a[152:153], a[24:25], 0// 0000000111F0: D3F3000C 1A023198
	v_mfma_f32_16x16x32_fp8_fp8 v[12:15], a[154:155], a[26:27], v[12:15]// 0000000111F8: D3F3000C 1C32359A
	v_mfma_f32_16x16x32_fp8_fp8 v[12:15], a[156:157], a[28:29], v[12:15]// 000000011200: D3F3000C 1C32399C
	ds_read_b128 a[128:131], v2 offset:40704                   // 000000011208: DBFE9F00 80000002
	ds_read_b128 a[132:135], v2 offset:40768                   // 000000011210: DBFE9F40 84000002
	v_mfma_f32_16x16x32_fp8_fp8 v[12:15], a[158:159], a[30:31], v[12:15]// 000000011218: D3F3000C 1C323D9E
	v_fma_f32 v172, v8, v6, v172                               // 000000011220: D1CB00AC 06B20D08
	v_fma_f32 v173, v9, v6, v173                               // 000000011228: D1CB00AD 06B60D09
	v_fma_f32 v174, v10, v6, v174                              // 000000011230: D1CB00AE 06BA0D0A
	v_fma_f32 v175, v11, v6, v175                              // 000000011238: D1CB00AF 06BE0D0B
	v_mul_f32_dpp v4, v28, v52 row_newbcast:0 row_mask:0xf bank_mask:0xf// 000000011240: 0A0868FA FF01501C
	v_mfma_f32_16x16x32_fp8_fp8 v[8:11], a[144:145], a[32:33], 0// 000000011248: D3F30008 1A024190
	v_mfma_f32_16x16x32_fp8_fp8 v[8:11], a[146:147], a[34:35], v[8:11]// 000000011250: D3F30008 1C224592
	v_mfma_f32_16x16x32_fp8_fp8 v[8:11], a[148:149], a[36:37], v[8:11]// 000000011258: D3F30008 1C224994
	ds_read_b128 a[136:139], v2 offset:41216                   // 000000011260: DBFEA100 88000002
	ds_read_b128 a[140:143], v2 offset:41280                   // 000000011268: DBFEA140 8C000002
	v_mfma_f32_16x16x32_fp8_fp8 v[8:11], a[150:151], a[38:39], v[8:11]// 000000011270: D3F30008 1C224D96
	v_fma_f32 v208, v12, v6, v208                              // 000000011278: D1CB00D0 07420D0C
	v_fma_f32 v209, v13, v6, v209                              // 000000011280: D1CB00D1 07460D0D
	v_fma_f32 v210, v14, v6, v210                              // 000000011288: D1CB00D2 074A0D0E
	v_fma_f32 v211, v15, v6, v211                              // 000000011290: D1CB00D3 074E0D0F
	v_mfma_f32_16x16x32_fp8_fp8 v[12:15], a[152:153], a[32:33], 0// 000000011298: D3F3000C 1A024198
	v_mfma_f32_16x16x32_fp8_fp8 v[12:15], a[154:155], a[34:35], v[12:15]// 0000000112A0: D3F3000C 1C32459A
	v_mfma_f32_16x16x32_fp8_fp8 v[12:15], a[156:157], a[36:37], v[12:15]// 0000000112A8: D3F3000C 1C32499C
	v_mfma_f32_16x16x32_fp8_fp8 v[12:15], a[158:159], a[38:39], v[12:15]// 0000000112B0: D3F3000C 1C324D9E
	v_fma_f32 v176, v8, v4, v176                               // 0000000112B8: D1CB00B0 06C20908
	v_fma_f32 v177, v9, v4, v177                               // 0000000112C0: D1CB00B1 06C60909
	v_fma_f32 v178, v10, v4, v178                              // 0000000112C8: D1CB00B2 06CA090A
	v_fma_f32 v179, v11, v4, v179                              // 0000000112D0: D1CB00B3 06CE090B
	v_mul_f32_dpp v6, v28, v53 row_newbcast:0 row_mask:0xf bank_mask:0xf// 0000000112D8: 0A0C6AFA FF01501C
	v_mfma_f32_16x16x32_fp8_fp8 v[8:11], a[144:145], a[40:41], 0// 0000000112E0: D3F30008 1A025190
	v_mfma_f32_16x16x32_fp8_fp8 v[8:11], a[146:147], a[42:43], v[8:11]// 0000000112E8: D3F30008 1C225592
	v_mfma_f32_16x16x32_fp8_fp8 v[8:11], a[148:149], a[44:45], v[8:11]// 0000000112F0: D3F30008 1C225994
	v_mfma_f32_16x16x32_fp8_fp8 v[8:11], a[150:151], a[46:47], v[8:11]// 0000000112F8: D3F30008 1C225D96
	v_fma_f32 v212, v12, v4, v212                              // 000000011300: D1CB00D4 0752090C
	v_fma_f32 v213, v13, v4, v213                              // 000000011308: D1CB00D5 0756090D
	v_fma_f32 v214, v14, v4, v214                              // 000000011310: D1CB00D6 075A090E
	v_fma_f32 v215, v15, v4, v215                              // 000000011318: D1CB00D7 075E090F
	v_mfma_f32_16x16x32_fp8_fp8 v[12:15], a[152:153], a[40:41], 0// 000000011320: D3F3000C 1A025198
	v_mfma_f32_16x16x32_fp8_fp8 v[12:15], a[154:155], a[42:43], v[12:15]// 000000011328: D3F3000C 1C32559A
	v_mfma_f32_16x16x32_fp8_fp8 v[12:15], a[156:157], a[44:45], v[12:15]// 000000011330: D3F3000C 1C32599C
	v_mfma_f32_16x16x32_fp8_fp8 v[12:15], a[158:159], a[46:47], v[12:15]// 000000011338: D3F3000C 1C325D9E
	v_fma_f32 v180, v8, v6, v180                               // 000000011340: D1CB00B4 06D20D08
	v_fma_f32 v181, v9, v6, v181                               // 000000011348: D1CB00B5 06D60D09
	v_fma_f32 v182, v10, v6, v182                              // 000000011350: D1CB00B6 06DA0D0A
	v_fma_f32 v183, v11, v6, v183                              // 000000011358: D1CB00B7 06DE0D0B
	v_mul_f32_dpp v4, v28, v54 row_newbcast:0 row_mask:0xf bank_mask:0xf// 000000011360: 0A086CFA FF01501C
	v_mfma_f32_16x16x32_fp8_fp8 v[8:11], a[144:145], a[48:49], 0// 000000011368: D3F30008 1A026190
	v_mfma_f32_16x16x32_fp8_fp8 v[8:11], a[146:147], a[50:51], v[8:11]// 000000011370: D3F30008 1C226592
	v_mfma_f32_16x16x32_fp8_fp8 v[8:11], a[148:149], a[52:53], v[8:11]// 000000011378: D3F30008 1C226994
	v_mfma_f32_16x16x32_fp8_fp8 v[8:11], a[150:151], a[54:55], v[8:11]// 000000011380: D3F30008 1C226D96
	v_fma_f32 v216, v12, v6, v216                              // 000000011388: D1CB00D8 07620D0C
	v_fma_f32 v217, v13, v6, v217                              // 000000011390: D1CB00D9 07660D0D
	v_fma_f32 v218, v14, v6, v218                              // 000000011398: D1CB00DA 076A0D0E
	v_fma_f32 v219, v15, v6, v219                              // 0000000113A0: D1CB00DB 076E0D0F
	v_mfma_f32_16x16x32_fp8_fp8 v[12:15], a[152:153], a[48:49], 0// 0000000113A8: D3F3000C 1A026198
	v_mfma_f32_16x16x32_fp8_fp8 v[12:15], a[154:155], a[50:51], v[12:15]// 0000000113B0: D3F3000C 1C32659A
	v_mfma_f32_16x16x32_fp8_fp8 v[12:15], a[156:157], a[52:53], v[12:15]// 0000000113B8: D3F3000C 1C32699C
	v_mfma_f32_16x16x32_fp8_fp8 v[12:15], a[158:159], a[54:55], v[12:15]// 0000000113C0: D3F3000C 1C326D9E
	v_fma_f32 v184, v8, v4, v184                               // 0000000113C8: D1CB00B8 06E20908
	v_fma_f32 v185, v9, v4, v185                               // 0000000113D0: D1CB00B9 06E60909
	v_fma_f32 v186, v10, v4, v186                              // 0000000113D8: D1CB00BA 06EA090A
	v_fma_f32 v187, v11, v4, v187                              // 0000000113E0: D1CB00BB 06EE090B
	v_mul_f32_dpp v6, v28, v55 row_newbcast:0 row_mask:0xf bank_mask:0xf// 0000000113E8: 0A0C6EFA FF01501C
	v_mfma_f32_16x16x32_fp8_fp8 v[8:11], a[144:145], a[56:57], 0// 0000000113F0: D3F30008 1A027190
	v_mfma_f32_16x16x32_fp8_fp8 v[8:11], a[146:147], a[58:59], v[8:11]// 0000000113F8: D3F30008 1C227592
	v_mfma_f32_16x16x32_fp8_fp8 v[8:11], a[148:149], a[60:61], v[8:11]// 000000011400: D3F30008 1C227994
	v_mfma_f32_16x16x32_fp8_fp8 v[8:11], a[150:151], a[62:63], v[8:11]// 000000011408: D3F30008 1C227D96
	v_fma_f32 v220, v12, v4, v220                              // 000000011410: D1CB00DC 0772090C
	v_fma_f32 v221, v13, v4, v221                              // 000000011418: D1CB00DD 0776090D
	v_fma_f32 v222, v14, v4, v222                              // 000000011420: D1CB00DE 077A090E
	v_fma_f32 v223, v15, v4, v223                              // 000000011428: D1CB00DF 077E090F
	v_mfma_f32_16x16x32_fp8_fp8 v[12:15], a[152:153], a[56:57], 0// 000000011430: D3F3000C 1A027198
	v_mfma_f32_16x16x32_fp8_fp8 v[12:15], a[154:155], a[58:59], v[12:15]// 000000011438: D3F3000C 1C32759A
	v_mfma_f32_16x16x32_fp8_fp8 v[12:15], a[156:157], a[60:61], v[12:15]// 000000011440: D3F3000C 1C32799C
	v_mfma_f32_16x16x32_fp8_fp8 v[12:15], a[158:159], a[62:63], v[12:15]// 000000011448: D3F3000C 1C327D9E
	v_fma_f32 v188, v8, v6, v188                               // 000000011450: D1CB00BC 06F20D08
	v_fma_f32 v189, v9, v6, v189                               // 000000011458: D1CB00BD 06F60D09
	v_fma_f32 v190, v10, v6, v190                              // 000000011460: D1CB00BE 06FA0D0A
	v_fma_f32 v191, v11, v6, v191                              // 000000011468: D1CB00BF 06FE0D0B
	v_mul_f32_dpp v4, v28, v56 row_newbcast:0 row_mask:0xf bank_mask:0xf// 000000011470: 0A0870FA FF01501C
	v_mfma_f32_16x16x32_fp8_fp8 v[8:11], a[144:145], a[64:65], 0// 000000011478: D3F30008 1A028190
	s_add_u32 s60, 0x180, s80                                  // 000000011480: 803C50FF 00000180
	s_cmp_lt_u32 s60, s81                                      // 000000011488: BF0A513C
	s_cselect_b32 s57, s57, 0                                  // 00000001148C: 85398039
	s_cselect_b32 s3, s3, 0                                    // 000000011490: 85038003
	v_mfma_f32_16x16x32_fp8_fp8 v[8:11], a[146:147], a[66:67], v[8:11]// 000000011494: D3F30008 1C228592
	s_add_u32 s60, 0x100, s80                                  // 00000001149C: 803C50FF 00000100
	s_cmp_lt_u32 s60, s81                                      // 0000000114A4: BF0A513C
	s_cselect_b32 s58, s58, 0                                  // 0000000114A8: 853A803A
	v_mfma_f32_16x16x32_fp8_fp8 v[8:11], a[148:149], a[68:69], v[8:11]// 0000000114AC: D3F30008 1C228994
	s_add_u32 s60, 0x100, s80                                  // 0000000114B4: 803C50FF 00000100
	s_cmp_lt_u32 s60, s81                                      // 0000000114BC: BF0A513C
	s_cselect_b32 s83, s83, 0                                  // 0000000114C0: 85538053
	s_cselect_b32 s4, s4, 0                                    // 0000000114C4: 85048004
	v_mfma_f32_16x16x32_fp8_fp8 v[8:11], a[150:151], a[70:71], v[8:11]// 0000000114C8: D3F30008 1C228D96
	s_add_u32 s24, s58, s24                                    // 0000000114D0: 8018183A
	s_addc_u32 s25, 0, s25                                     // 0000000114D4: 82191980
	v_fma_f32 v224, v12, v6, v224                              // 0000000114D8: D1CB00E0 07820D0C
	v_fma_f32 v225, v13, v6, v225                              // 0000000114E0: D1CB00E1 07860D0D
	v_fma_f32 v226, v14, v6, v226                              // 0000000114E8: D1CB00E2 078A0D0E
	v_fma_f32 v227, v15, v6, v227                              // 0000000114F0: D1CB00E3 078E0D0F
	v_mfma_f32_16x16x32_fp8_fp8 v[12:15], a[152:153], a[64:65], 0// 0000000114F8: D3F3000C 1A028198
	s_add_u32 s20, s57, s20                                    // 000000011500: 80141439
	s_addc_u32 s21, 0, s21                                     // 000000011504: 82151580
	s_add_u32 s28, s3, s28                                     // 000000011508: 801C1C03
	s_addc_u32 s29, 0, s29                                     // 00000001150C: 821D1D80
	v_mfma_f32_16x16x32_fp8_fp8 v[12:15], a[154:155], a[66:67], v[12:15]// 000000011510: D3F3000C 1C32859A
	s_add_u32 s84, s83, s84                                    // 000000011518: 80545453
	s_addc_u32 s85, 0, s85                                     // 00000001151C: 82555580
	v_mfma_f32_16x16x32_fp8_fp8 v[12:15], a[156:157], a[68:69], v[12:15]// 000000011520: D3F3000C 1C32899C
	s_add_u32 s32, s4, s32                                     // 000000011528: 80202004
	s_addc_u32 s33, 0, s33                                     // 00000001152C: 82212180
	v_mfma_f32_16x16x32_fp8_fp8 v[12:15], a[158:159], a[70:71], v[12:15]// 000000011530: D3F3000C 1C328D9E
	v_fma_f32 v192, v8, v4, v192                               // 000000011538: D1CB00C0 07020908
	v_fma_f32 v193, v9, v4, v193                               // 000000011540: D1CB00C1 07060909
	v_fma_f32 v194, v10, v4, v194                              // 000000011548: D1CB00C2 070A090A
	v_fma_f32 v195, v11, v4, v195                              // 000000011550: D1CB00C3 070E090B
	v_fma_f32 v228, v12, v4, v228                              // 000000011558: D1CB00E4 0792090C
	v_fma_f32 v229, v13, v4, v229                              // 000000011560: D1CB00E5 0796090D
	v_fma_f32 v230, v14, v4, v230                              // 000000011568: D1CB00E6 079A090E
	v_fma_f32 v231, v15, v4, v231                              // 000000011570: D1CB00E7 079E090F
	s_addk_i32 s80, 0x80                                       // 000000011578: B7500080
	s_cmp_lt_i32 s80, s81                                      // 00000001157C: BF045150
	s_cbranch_scc0 label_3DF8                                  // 000000011580: BF840314
	s_waitcnt vmcnt(32) lgkmcnt(0)                             // 000000011584: BF8C8070
	v_mul_f32_dpp v4, v26, v57 row_newbcast:0 row_mask:0xf bank_mask:0xf// 000000011588: 0A0872FA FF01501A
	v_mfma_f32_16x16x32_fp8_fp8 v[8:11], a[160:161], a[72:73], 0// 000000011590: D3F30008 1A0291A0
	buffer_load_dword v24, v22, s[32:35], 0 offen              // 000000011598: E0501000 80081816
	buffer_load_dwordx4 a[144:147], v84, s[24:27], 0 offen     // 0000000115A0: E05C1000 80869054
	v_mfma_f32_16x16x32_fp8_fp8 v[8:11], a[162:163], a[74:75], v[8:11]// 0000000115A8: D3F30008 1C2295A2
	v_mfma_f32_16x16x32_fp8_fp8 v[8:11], a[164:165], a[76:77], v[8:11]// 0000000115B0: D3F30008 1C2299A4
	v_mfma_f32_16x16x32_fp8_fp8 v[8:11], a[166:167], a[78:79], v[8:11]// 0000000115B8: D3F30008 1C229DA6
	v_mfma_f32_16x16x32_fp8_fp8 v[12:15], a[168:169], a[72:73], 0// 0000000115C0: D3F3000C 1A0291A8
	buffer_load_dwordx4 a[148:151], v84, s[24:27], 0 offen offset:1024// 0000000115C8: E05C1400 80869454
	v_mfma_f32_16x16x32_fp8_fp8 v[12:15], a[170:171], a[74:75], v[12:15]// 0000000115D0: D3F3000C 1C3295AA
	v_mfma_f32_16x16x32_fp8_fp8 v[12:15], a[172:173], a[76:77], v[12:15]// 0000000115D8: D3F3000C 1C3299AC
	v_mfma_f32_16x16x32_fp8_fp8 v[12:15], a[174:175], a[78:79], v[12:15]// 0000000115E0: D3F3000C 1C329DAE
	v_fma_f32 v88, v8, v4, v88                                 // 0000000115E8: D1CB0058 05620908
	v_fma_f32 v89, v9, v4, v89                                 // 0000000115F0: D1CB0059 05660909
	v_fma_f32 v90, v10, v4, v90                                // 0000000115F8: D1CB005A 056A090A
	v_fma_f32 v91, v11, v4, v91                                // 000000011600: D1CB005B 056E090B
	v_mul_f32_dpp v6, v26, v58 row_newbcast:0 row_mask:0xf bank_mask:0xf// 000000011608: 0A0C74FA FF01501A
	v_mfma_f32_16x16x32_fp8_fp8 v[8:11], a[160:161], a[80:81], 0// 000000011610: D3F30008 1A02A1A0
	buffer_load_dwordx4 a[152:155], v85, s[24:27], 0 offen     // 000000011618: E05C1000 80869855
	v_mfma_f32_16x16x32_fp8_fp8 v[8:11], a[162:163], a[82:83], v[8:11]// 000000011620: D3F30008 1C22A5A2
	v_mfma_f32_16x16x32_fp8_fp8 v[8:11], a[164:165], a[84:85], v[8:11]// 000000011628: D3F30008 1C22A9A4
	v_mfma_f32_16x16x32_fp8_fp8 v[8:11], a[166:167], a[86:87], v[8:11]// 000000011630: D3F30008 1C22ADA6
	v_fma_f32 v124, v12, v4, v124                              // 000000011638: D1CB007C 05F2090C
	v_fma_f32 v125, v13, v4, v125                              // 000000011640: D1CB007D 05F6090D
	v_fma_f32 v126, v14, v4, v126                              // 000000011648: D1CB007E 05FA090E
	v_fma_f32 v127, v15, v4, v127                              // 000000011650: D1CB007F 05FE090F
	v_mfma_f32_16x16x32_fp8_fp8 v[12:15], a[168:169], a[80:81], 0// 000000011658: D3F3000C 1A02A1A8
	buffer_load_dwordx4 a[156:159], v85, s[24:27], 0 offen offset:1024// 000000011660: E05C1400 80869C55
	buffer_load_dword v66, s[20:23], 0 offen lds               // 000000011668: E0511000 80050042
	s_add_u32 m0, 0x100, s49                                   // 000000011670: 807C31FF 00000100
	v_mfma_f32_16x16x32_fp8_fp8 v[12:15], a[170:171], a[82:83], v[12:15]// 000000011678: D3F3000C 1C32A5AA
	v_mfma_f32_16x16x32_fp8_fp8 v[12:15], a[172:173], a[84:85], v[12:15]// 000000011680: D3F3000C 1C32A9AC
	buffer_load_dword v67, s[20:23], 0 offen lds               // 000000011688: E0511000 80050043
	s_add_u32 m0, 0x200, s49                                   // 000000011690: 807C31FF 00000200
	v_mfma_f32_16x16x32_fp8_fp8 v[12:15], a[174:175], a[86:87], v[12:15]// 000000011698: D3F3000C 1C32ADAE
	v_fma_f32 v92, v8, v6, v92                                 // 0000000116A0: D1CB005C 05720D08
	v_fma_f32 v93, v9, v6, v93                                 // 0000000116A8: D1CB005D 05760D09
	v_fma_f32 v94, v10, v6, v94                                // 0000000116B0: D1CB005E 057A0D0A
	v_fma_f32 v95, v11, v6, v95                                // 0000000116B8: D1CB005F 057E0D0B
	v_mul_f32_dpp v4, v26, v59 row_newbcast:0 row_mask:0xf bank_mask:0xf// 0000000116C0: 0A0876FA FF01501A
	v_mfma_f32_16x16x32_fp8_fp8 v[8:11], a[160:161], a[88:89], 0// 0000000116C8: D3F30008 1A02B1A0
	buffer_load_dword v68, s[20:23], 0 offen lds               // 0000000116D0: E0511000 80050044
	s_add_u32 m0, 0x300, s49                                   // 0000000116D8: 807C31FF 00000300
	v_mfma_f32_16x16x32_fp8_fp8 v[8:11], a[162:163], a[90:91], v[8:11]// 0000000116E0: D3F30008 1C22B5A2
	v_mfma_f32_16x16x32_fp8_fp8 v[8:11], a[164:165], a[92:93], v[8:11]// 0000000116E8: D3F30008 1C22B9A4
	buffer_load_dword v69, s[20:23], 0 offen lds               // 0000000116F0: E0511000 80050045
	s_add_u32 m0, 0x400, s49                                   // 0000000116F8: 807C31FF 00000400
	v_mfma_f32_16x16x32_fp8_fp8 v[8:11], a[166:167], a[94:95], v[8:11]// 000000011700: D3F30008 1C22BDA6
	v_fma_f32 v128, v12, v6, v128                              // 000000011708: D1CB0080 06020D0C
	v_fma_f32 v129, v13, v6, v129                              // 000000011710: D1CB0081 06060D0D
	v_fma_f32 v130, v14, v6, v130                              // 000000011718: D1CB0082 060A0D0E
	v_fma_f32 v131, v15, v6, v131                              // 000000011720: D1CB0083 060E0D0F
	v_mfma_f32_16x16x32_fp8_fp8 v[12:15], a[168:169], a[88:89], 0// 000000011728: D3F3000C 1A02B1A8
	buffer_load_dword v70, s[20:23], 0 offen lds               // 000000011730: E0511000 80050046
	s_add_u32 m0, 0x500, s49                                   // 000000011738: 807C31FF 00000500
	v_mfma_f32_16x16x32_fp8_fp8 v[12:15], a[170:171], a[90:91], v[12:15]// 000000011740: D3F3000C 1C32B5AA
	v_mfma_f32_16x16x32_fp8_fp8 v[12:15], a[172:173], a[92:93], v[12:15]// 000000011748: D3F3000C 1C32B9AC
	buffer_load_dword v71, s[20:23], 0 offen lds               // 000000011750: E0511000 80050047
	s_add_u32 m0, 0x600, s49                                   // 000000011758: 807C31FF 00000600
	v_mfma_f32_16x16x32_fp8_fp8 v[12:15], a[174:175], a[94:95], v[12:15]// 000000011760: D3F3000C 1C32BDAE
	v_fma_f32 v96, v8, v4, v96                                 // 000000011768: D1CB0060 05820908
	v_fma_f32 v97, v9, v4, v97                                 // 000000011770: D1CB0061 05860909
	v_fma_f32 v98, v10, v4, v98                                // 000000011778: D1CB0062 058A090A
	v_fma_f32 v99, v11, v4, v99                                // 000000011780: D1CB0063 058E090B
	v_mul_f32_dpp v6, v26, v60 row_newbcast:0 row_mask:0xf bank_mask:0xf// 000000011788: 0A0C78FA FF01501A
	v_mfma_f32_16x16x32_fp8_fp8 v[8:11], a[160:161], a[96:97], 0// 000000011790: D3F30008 1A02C1A0
	buffer_load_dword v72, s[20:23], 0 offen lds               // 000000011798: E0511000 80050048
	s_add_u32 m0, 0x700, s49                                   // 0000000117A0: 807C31FF 00000700
	v_mfma_f32_16x16x32_fp8_fp8 v[8:11], a[162:163], a[98:99], v[8:11]// 0000000117A8: D3F30008 1C22C5A2
	v_mfma_f32_16x16x32_fp8_fp8 v[8:11], a[164:165], a[100:101], v[8:11]// 0000000117B0: D3F30008 1C22C9A4
	buffer_load_dword v73, s[20:23], 0 offen lds               // 0000000117B8: E0511000 80050049
	s_add_u32 m0, 0x800, s49                                   // 0000000117C0: 807C31FF 00000800
	v_mfma_f32_16x16x32_fp8_fp8 v[8:11], a[166:167], a[102:103], v[8:11]// 0000000117C8: D3F30008 1C22CDA6
	v_fma_f32 v132, v12, v4, v132                              // 0000000117D0: D1CB0084 0612090C
	v_fma_f32 v133, v13, v4, v133                              // 0000000117D8: D1CB0085 0616090D
	v_fma_f32 v134, v14, v4, v134                              // 0000000117E0: D1CB0086 061A090E
	v_fma_f32 v135, v15, v4, v135                              // 0000000117E8: D1CB0087 061E090F
	v_mfma_f32_16x16x32_fp8_fp8 v[12:15], a[168:169], a[96:97], 0// 0000000117F0: D3F3000C 1A02C1A8
	buffer_load_dword v74, s[20:23], 0 offen lds               // 0000000117F8: E0511000 8005004A
	s_add_u32 m0, 0x900, s49                                   // 000000011800: 807C31FF 00000900
	v_mfma_f32_16x16x32_fp8_fp8 v[12:15], a[170:171], a[98:99], v[12:15]// 000000011808: D3F3000C 1C32C5AA
	v_mfma_f32_16x16x32_fp8_fp8 v[12:15], a[172:173], a[100:101], v[12:15]// 000000011810: D3F3000C 1C32C9AC
	buffer_load_dword v75, s[20:23], 0 offen lds               // 000000011818: E0511000 8005004B
	s_add_u32 m0, 0xa00, s49                                   // 000000011820: 807C31FF 00000A00
	v_mfma_f32_16x16x32_fp8_fp8 v[12:15], a[174:175], a[102:103], v[12:15]// 000000011828: D3F3000C 1C32CDAE
	v_fma_f32 v100, v8, v6, v100                               // 000000011830: D1CB0064 05920D08
	v_fma_f32 v101, v9, v6, v101                               // 000000011838: D1CB0065 05960D09
	v_fma_f32 v102, v10, v6, v102                              // 000000011840: D1CB0066 059A0D0A
	v_fma_f32 v103, v11, v6, v103                              // 000000011848: D1CB0067 059E0D0B
	v_mul_f32_dpp v4, v26, v61 row_newbcast:0 row_mask:0xf bank_mask:0xf// 000000011850: 0A087AFA FF01501A
	v_mfma_f32_16x16x32_fp8_fp8 v[8:11], a[160:161], a[104:105], 0// 000000011858: D3F30008 1A02D1A0
	buffer_load_dword v76, s[20:23], 0 offen lds               // 000000011860: E0511000 8005004C
	s_add_u32 m0, 0xb00, s49                                   // 000000011868: 807C31FF 00000B00
	v_mfma_f32_16x16x32_fp8_fp8 v[8:11], a[162:163], a[106:107], v[8:11]// 000000011870: D3F30008 1C22D5A2
	v_mfma_f32_16x16x32_fp8_fp8 v[8:11], a[164:165], a[108:109], v[8:11]// 000000011878: D3F30008 1C22D9A4
	buffer_load_dword v77, s[20:23], 0 offen lds               // 000000011880: E0511000 8005004D
	s_add_u32 m0, 0xc00, s49                                   // 000000011888: 807C31FF 00000C00
	v_mfma_f32_16x16x32_fp8_fp8 v[8:11], a[166:167], a[110:111], v[8:11]// 000000011890: D3F30008 1C22DDA6
	v_fma_f32 v136, v12, v6, v136                              // 000000011898: D1CB0088 06220D0C
	v_fma_f32 v137, v13, v6, v137                              // 0000000118A0: D1CB0089 06260D0D
	v_fma_f32 v138, v14, v6, v138                              // 0000000118A8: D1CB008A 062A0D0E
	v_fma_f32 v139, v15, v6, v139                              // 0000000118B0: D1CB008B 062E0D0F
	v_mfma_f32_16x16x32_fp8_fp8 v[12:15], a[168:169], a[104:105], 0// 0000000118B8: D3F3000C 1A02D1A8
	buffer_load_dword v78, s[20:23], 0 offen lds               // 0000000118C0: E0511000 8005004E
	s_add_u32 m0, 0xd00, s49                                   // 0000000118C8: 807C31FF 00000D00
	v_mfma_f32_16x16x32_fp8_fp8 v[12:15], a[170:171], a[106:107], v[12:15]// 0000000118D0: D3F3000C 1C32D5AA
	v_mfma_f32_16x16x32_fp8_fp8 v[12:15], a[172:173], a[108:109], v[12:15]// 0000000118D8: D3F3000C 1C32D9AC
	buffer_load_dword v79, s[20:23], 0 offen lds               // 0000000118E0: E0511000 8005004F
	s_add_u32 m0, 0xe00, s49                                   // 0000000118E8: 807C31FF 00000E00
	v_mfma_f32_16x16x32_fp8_fp8 v[12:15], a[174:175], a[110:111], v[12:15]// 0000000118F0: D3F3000C 1C32DDAE
	v_fma_f32 v104, v8, v4, v104                               // 0000000118F8: D1CB0068 05A20908
	v_fma_f32 v105, v9, v4, v105                               // 000000011900: D1CB0069 05A60909
	v_fma_f32 v106, v10, v4, v106                              // 000000011908: D1CB006A 05AA090A
	v_fma_f32 v107, v11, v4, v107                              // 000000011910: D1CB006B 05AE090B
	v_mul_f32_dpp v6, v26, v62 row_newbcast:0 row_mask:0xf bank_mask:0xf// 000000011918: 0A0C7CFA FF01501A
	v_mfma_f32_16x16x32_fp8_fp8 v[8:11], a[160:161], a[112:113], 0// 000000011920: D3F30008 1A02E1A0
	buffer_load_dword v80, s[20:23], 0 offen lds               // 000000011928: E0511000 80050050
	s_add_u32 m0, 0xf00, s49                                   // 000000011930: 807C31FF 00000F00
	v_mfma_f32_16x16x32_fp8_fp8 v[8:11], a[162:163], a[114:115], v[8:11]// 000000011938: D3F30008 1C22E5A2
	v_mfma_f32_16x16x32_fp8_fp8 v[8:11], a[164:165], a[116:117], v[8:11]// 000000011940: D3F30008 1C22E9A4
	buffer_load_dword v81, s[20:23], 0 offen lds               // 000000011948: E0511000 80050051
	s_add_u32 m0, 0x1000, s49                                  // 000000011950: 807C31FF 00001000
	v_mfma_f32_16x16x32_fp8_fp8 v[8:11], a[166:167], a[118:119], v[8:11]// 000000011958: D3F30008 1C22EDA6
	v_fma_f32 v140, v12, v4, v140                              // 000000011960: D1CB008C 0632090C
	v_fma_f32 v141, v13, v4, v141                              // 000000011968: D1CB008D 0636090D
	v_fma_f32 v142, v14, v4, v142                              // 000000011970: D1CB008E 063A090E
	v_fma_f32 v143, v15, v4, v143                              // 000000011978: D1CB008F 063E090F
	v_mfma_f32_16x16x32_fp8_fp8 v[12:15], a[168:169], a[112:113], 0// 000000011980: D3F3000C 1A02E1A8
	buffer_load_dword v82, s[20:23], 0 offen lds               // 000000011988: E0511000 80050052
	s_add_u32 m0, 0x1100, s49                                  // 000000011990: 807C31FF 00001100
	v_mfma_f32_16x16x32_fp8_fp8 v[12:15], a[170:171], a[114:115], v[12:15]// 000000011998: D3F3000C 1C32E5AA
	v_mfma_f32_16x16x32_fp8_fp8 v[12:15], a[172:173], a[116:117], v[12:15]// 0000000119A0: D3F3000C 1C32E9AC
	buffer_load_dword v83, s[20:23], 0 offen lds               // 0000000119A8: E0511000 80050053
	s_add_u32 m0, 0, s50                                       // 0000000119B0: 807C3280
	v_mfma_f32_16x16x32_fp8_fp8 v[12:15], a[174:175], a[118:119], v[12:15]// 0000000119B4: D3F3000C 1C32EDAE
	v_fma_f32 v108, v8, v6, v108                               // 0000000119BC: D1CB006C 05B20D08
	v_fma_f32 v109, v9, v6, v109                               // 0000000119C4: D1CB006D 05B60D09
	v_fma_f32 v110, v10, v6, v110                              // 0000000119CC: D1CB006E 05BA0D0A
	v_fma_f32 v111, v11, v6, v111                              // 0000000119D4: D1CB006F 05BE0D0B
	v_mul_f32_dpp v4, v26, v63 row_newbcast:0 row_mask:0xf bank_mask:0xf// 0000000119DC: 0A087EFA FF01501A
	v_mfma_f32_16x16x32_fp8_fp8 v[8:11], a[160:161], a[120:121], 0// 0000000119E4: D3F30008 1A02F1A0
	buffer_load_dword v48, v30, s[28:31], 0 offen              // 0000000119EC: E0501000 8007301E
	v_mfma_f32_16x16x32_fp8_fp8 v[8:11], a[162:163], a[122:123], v[8:11]// 0000000119F4: D3F30008 1C22F5A2
	v_mfma_f32_16x16x32_fp8_fp8 v[8:11], a[164:165], a[124:125], v[8:11]// 0000000119FC: D3F30008 1C22F9A4
	buffer_load_dword v49, v31, s[28:31], 0 offen              // 000000011A04: E0501000 8007311F
	v_mfma_f32_16x16x32_fp8_fp8 v[8:11], a[166:167], a[126:127], v[8:11]// 000000011A0C: D3F30008 1C22FDA6
	v_fma_f32 v144, v12, v6, v144                              // 000000011A14: D1CB0090 06420D0C
	v_fma_f32 v145, v13, v6, v145                              // 000000011A1C: D1CB0091 06460D0D
	v_fma_f32 v146, v14, v6, v146                              // 000000011A24: D1CB0092 064A0D0E
	v_fma_f32 v147, v15, v6, v147                              // 000000011A2C: D1CB0093 064E0D0F
	v_mfma_f32_16x16x32_fp8_fp8 v[12:15], a[168:169], a[120:121], 0// 000000011A34: D3F3000C 1A02F1A8
	buffer_load_dword v50, v32, s[28:31], 0 offen              // 000000011A3C: E0501000 80073220
	v_mfma_f32_16x16x32_fp8_fp8 v[12:15], a[170:171], a[122:123], v[12:15]// 000000011A44: D3F3000C 1C32F5AA
	v_mfma_f32_16x16x32_fp8_fp8 v[12:15], a[172:173], a[124:125], v[12:15]// 000000011A4C: D3F3000C 1C32F9AC
	buffer_load_dword v51, v33, s[28:31], 0 offen              // 000000011A54: E0501000 80073321
	v_mfma_f32_16x16x32_fp8_fp8 v[12:15], a[174:175], a[126:127], v[12:15]// 000000011A5C: D3F3000C 1C32FDAE
	v_fma_f32 v112, v8, v4, v112                               // 000000011A64: D1CB0070 05C20908
	v_fma_f32 v113, v9, v4, v113                               // 000000011A6C: D1CB0071 05C60909
	v_fma_f32 v114, v10, v4, v114                              // 000000011A74: D1CB0072 05CA090A
	v_fma_f32 v115, v11, v4, v115                              // 000000011A7C: D1CB0073 05CE090B
	v_mul_f32_dpp v6, v26, v64 row_newbcast:0 row_mask:0xf bank_mask:0xf// 000000011A84: 0A0C80FA FF01501A
	v_mfma_f32_16x16x32_fp8_fp8 v[8:11], a[160:161], a[128:129], 0// 000000011A8C: D3F30008 1A0301A0
	buffer_load_dword v52, v34, s[28:31], 0 offen              // 000000011A94: E0501000 80073422
	v_mfma_f32_16x16x32_fp8_fp8 v[8:11], a[162:163], a[130:131], v[8:11]// 000000011A9C: D3F30008 1C2305A2
	v_mfma_f32_16x16x32_fp8_fp8 v[8:11], a[164:165], a[132:133], v[8:11]// 000000011AA4: D3F30008 1C2309A4
	buffer_load_dword v53, v35, s[28:31], 0 offen              // 000000011AAC: E0501000 80073523
	v_mfma_f32_16x16x32_fp8_fp8 v[8:11], a[166:167], a[134:135], v[8:11]// 000000011AB4: D3F30008 1C230DA6
	v_fma_f32 v148, v12, v4, v148                              // 000000011ABC: D1CB0094 0652090C
	v_fma_f32 v149, v13, v4, v149                              // 000000011AC4: D1CB0095 0656090D
	v_fma_f32 v150, v14, v4, v150                              // 000000011ACC: D1CB0096 065A090E
	v_fma_f32 v151, v15, v4, v151                              // 000000011AD4: D1CB0097 065E090F
	v_mfma_f32_16x16x32_fp8_fp8 v[12:15], a[168:169], a[128:129], 0// 000000011ADC: D3F3000C 1A0301A8
	buffer_load_dword v54, v36, s[28:31], 0 offen              // 000000011AE4: E0501000 80073624
	v_mfma_f32_16x16x32_fp8_fp8 v[12:15], a[170:171], a[130:131], v[12:15]// 000000011AEC: D3F3000C 1C3305AA
	v_mfma_f32_16x16x32_fp8_fp8 v[12:15], a[172:173], a[132:133], v[12:15]// 000000011AF4: D3F3000C 1C3309AC
	buffer_load_dword v55, v37, s[28:31], 0 offen              // 000000011AFC: E0501000 80073725
	v_mfma_f32_16x16x32_fp8_fp8 v[12:15], a[174:175], a[134:135], v[12:15]// 000000011B04: D3F3000C 1C330DAE
	v_fma_f32 v116, v8, v6, v116                               // 000000011B0C: D1CB0074 05D20D08
	v_fma_f32 v117, v9, v6, v117                               // 000000011B14: D1CB0075 05D60D09
	v_fma_f32 v118, v10, v6, v118                              // 000000011B1C: D1CB0076 05DA0D0A
	v_fma_f32 v119, v11, v6, v119                              // 000000011B24: D1CB0077 05DE0D0B
	v_mul_f32_dpp v4, v26, v65 row_newbcast:0 row_mask:0xf bank_mask:0xf// 000000011B2C: 0A0882FA FF01501A
	v_mfma_f32_16x16x32_fp8_fp8 v[8:11], a[160:161], a[136:137], 0// 000000011B34: D3F30008 1A0311A0
	buffer_load_dword v56, v38, s[28:31], 0 offen              // 000000011B3C: E0501000 80073826
	v_mfma_f32_16x16x32_fp8_fp8 v[8:11], a[162:163], a[138:139], v[8:11]// 000000011B44: D3F30008 1C2315A2
	v_mfma_f32_16x16x32_fp8_fp8 v[8:11], a[164:165], a[140:141], v[8:11]// 000000011B4C: D3F30008 1C2319A4
	v_mfma_f32_16x16x32_fp8_fp8 v[8:11], a[166:167], a[142:143], v[8:11]// 000000011B54: D3F30008 1C231DA6
	v_fma_f32 v152, v12, v6, v152                              // 000000011B5C: D1CB0098 06620D0C
	v_fma_f32 v153, v13, v6, v153                              // 000000011B64: D1CB0099 06660D0D
	v_fma_f32 v154, v14, v6, v154                              // 000000011B6C: D1CB009A 066A0D0E
	v_fma_f32 v155, v15, v6, v155                              // 000000011B74: D1CB009B 066E0D0F
	v_mfma_f32_16x16x32_fp8_fp8 v[12:15], a[168:169], a[136:137], 0// 000000011B7C: D3F3000C 1A0311A8
	v_mfma_f32_16x16x32_fp8_fp8 v[12:15], a[170:171], a[138:139], v[12:15]// 000000011B84: D3F3000C 1C3315AA
	v_mfma_f32_16x16x32_fp8_fp8 v[12:15], a[172:173], a[140:141], v[12:15]// 000000011B8C: D3F3000C 1C3319AC
	v_mfma_f32_16x16x32_fp8_fp8 v[12:15], a[174:175], a[142:143], v[12:15]// 000000011B94: D3F3000C 1C331DAE
	v_fma_f32 v120, v8, v4, v120                               // 000000011B9C: D1CB0078 05E20908
	v_fma_f32 v121, v9, v4, v121                               // 000000011BA4: D1CB0079 05E60909
	v_fma_f32 v122, v10, v4, v122                              // 000000011BAC: D1CB007A 05EA090A
	v_fma_f32 v123, v11, v4, v123                              // 000000011BB4: D1CB007B 05EE090B
	v_fma_f32 v156, v12, v4, v156                              // 000000011BBC: D1CB009C 0672090C
	v_fma_f32 v157, v13, v4, v157                              // 000000011BC4: D1CB009D 0676090D
	v_fma_f32 v158, v14, v4, v158                              // 000000011BCC: D1CB009E 067A090E
	v_fma_f32 v159, v15, v4, v159                              // 000000011BD4: D1CB009F 067E090F
	s_waitcnt vmcnt(32)                                        // 000000011BDC: BF8C8F70
	s_barrier                                                  // 000000011BE0: BF8A0000
	v_mul_f32_dpp v4, v29, v57 row_newbcast:0 row_mask:0xf bank_mask:0xf// 000000011BE4: 0A0872FA FF01501D
	v_mfma_f32_16x16x32_fp8_fp8 v[8:11], a[176:177], a[72:73], 0// 000000011BEC: D3F30008 1A0291B0
	buffer_load_dword v27, v23, s[32:35], 0 offen              // 000000011BF4: E0501000 80081B17
	buffer_load_dwordx4 a[160:163], v84, s[84:87], 0 offen     // 000000011BFC: E05C1000 8095A054
	v_mfma_f32_16x16x32_fp8_fp8 v[8:11], a[178:179], a[74:75], v[8:11]// 000000011C04: D3F30008 1C2295B2
	v_mfma_f32_16x16x32_fp8_fp8 v[8:11], a[180:181], a[76:77], v[8:11]// 000000011C0C: D3F30008 1C2299B4
	ds_read_b128 a[0:3], v2                                    // 000000011C14: DBFE0000 00000002
	ds_read_b128 a[4:7], v2 offset:64                          // 000000011C1C: DBFE0040 04000002
	v_mfma_f32_16x16x32_fp8_fp8 v[8:11], a[182:183], a[78:79], v[8:11]// 000000011C24: D3F30008 1C229DB6
	v_mfma_f32_16x16x32_fp8_fp8 v[12:15], a[184:185], a[72:73], 0// 000000011C2C: D3F3000C 1A0291B8
	buffer_load_dwordx4 a[164:167], v84, s[84:87], 0 offen offset:1024// 000000011C34: E05C1400 8095A454
	v_mfma_f32_16x16x32_fp8_fp8 v[12:15], a[186:187], a[74:75], v[12:15]// 000000011C3C: D3F3000C 1C3295BA
	v_mfma_f32_16x16x32_fp8_fp8 v[12:15], a[188:189], a[76:77], v[12:15]// 000000011C44: D3F3000C 1C3299BC
	ds_read_b128 a[8:11], v2 offset:512                        // 000000011C4C: DBFE0200 08000002
	ds_read_b128 a[12:15], v2 offset:576                       // 000000011C54: DBFE0240 0C000002
	v_mfma_f32_16x16x32_fp8_fp8 v[12:15], a[190:191], a[78:79], v[12:15]// 000000011C5C: D3F3000C 1C329DBE
	v_fma_f32 v160, v8, v4, v160                               // 000000011C64: D1CB00A0 06820908
	v_fma_f32 v161, v9, v4, v161                               // 000000011C6C: D1CB00A1 06860909
	v_fma_f32 v162, v10, v4, v162                              // 000000011C74: D1CB00A2 068A090A
	v_fma_f32 v163, v11, v4, v163                              // 000000011C7C: D1CB00A3 068E090B
	v_mul_f32_dpp v6, v29, v58 row_newbcast:0 row_mask:0xf bank_mask:0xf// 000000011C84: 0A0C74FA FF01501D
	v_mfma_f32_16x16x32_fp8_fp8 v[8:11], a[176:177], a[80:81], 0// 000000011C8C: D3F30008 1A02A1B0
	buffer_load_dwordx4 a[168:171], v85, s[84:87], 0 offen     // 000000011C94: E05C1000 8095A855
	v_mfma_f32_16x16x32_fp8_fp8 v[8:11], a[178:179], a[82:83], v[8:11]// 000000011C9C: D3F30008 1C22A5B2
	v_mfma_f32_16x16x32_fp8_fp8 v[8:11], a[180:181], a[84:85], v[8:11]// 000000011CA4: D3F30008 1C22A9B4
	ds_read_b128 a[16:19], v2 offset:1024                      // 000000011CAC: DBFE0400 10000002
	ds_read_b128 a[20:23], v2 offset:1088                      // 000000011CB4: DBFE0440 14000002
	v_mfma_f32_16x16x32_fp8_fp8 v[8:11], a[182:183], a[86:87], v[8:11]// 000000011CBC: D3F30008 1C22ADB6
	v_fma_f32 v196, v12, v4, v196                              // 000000011CC4: D1CB00C4 0712090C
	v_fma_f32 v197, v13, v4, v197                              // 000000011CCC: D1CB00C5 0716090D
	v_fma_f32 v198, v14, v4, v198                              // 000000011CD4: D1CB00C6 071A090E
	v_fma_f32 v199, v15, v4, v199                              // 000000011CDC: D1CB00C7 071E090F
	v_mfma_f32_16x16x32_fp8_fp8 v[12:15], a[184:185], a[80:81], 0// 000000011CE4: D3F3000C 1A02A1B8
	buffer_load_dwordx4 a[172:175], v85, s[84:87], 0 offen offset:1024// 000000011CEC: E05C1400 8095AC55
	v_mfma_f32_16x16x32_fp8_fp8 v[12:15], a[186:187], a[82:83], v[12:15]// 000000011CF4: D3F3000C 1C32A5BA
	v_mfma_f32_16x16x32_fp8_fp8 v[12:15], a[188:189], a[84:85], v[12:15]// 000000011CFC: D3F3000C 1C32A9BC
	ds_read_b128 a[24:27], v2 offset:1536                      // 000000011D04: DBFE0600 18000002
	ds_read_b128 a[28:31], v2 offset:1600                      // 000000011D0C: DBFE0640 1C000002
	v_mfma_f32_16x16x32_fp8_fp8 v[12:15], a[190:191], a[86:87], v[12:15]// 000000011D14: D3F3000C 1C32ADBE
	v_fma_f32 v164, v8, v6, v164                               // 000000011D1C: D1CB00A4 06920D08
	v_fma_f32 v165, v9, v6, v165                               // 000000011D24: D1CB00A5 06960D09
	v_fma_f32 v166, v10, v6, v166                              // 000000011D2C: D1CB00A6 069A0D0A
	v_fma_f32 v167, v11, v6, v167                              // 000000011D34: D1CB00A7 069E0D0B
	v_mul_f32_dpp v4, v29, v59 row_newbcast:0 row_mask:0xf bank_mask:0xf// 000000011D3C: 0A0876FA FF01501D
	v_mfma_f32_16x16x32_fp8_fp8 v[8:11], a[176:177], a[88:89], 0// 000000011D44: D3F30008 1A02B1B0
	v_mfma_f32_16x16x32_fp8_fp8 v[8:11], a[178:179], a[90:91], v[8:11]// 000000011D4C: D3F30008 1C22B5B2
	v_mfma_f32_16x16x32_fp8_fp8 v[8:11], a[180:181], a[92:93], v[8:11]// 000000011D54: D3F30008 1C22B9B4
	ds_read_b128 a[32:35], v2 offset:2048                      // 000000011D5C: DBFE0800 20000002
	ds_read_b128 a[36:39], v2 offset:2112                      // 000000011D64: DBFE0840 24000002
	v_mfma_f32_16x16x32_fp8_fp8 v[8:11], a[182:183], a[94:95], v[8:11]// 000000011D6C: D3F30008 1C22BDB6
	v_fma_f32 v200, v12, v6, v200                              // 000000011D74: D1CB00C8 07220D0C
	v_fma_f32 v201, v13, v6, v201                              // 000000011D7C: D1CB00C9 07260D0D
	v_fma_f32 v202, v14, v6, v202                              // 000000011D84: D1CB00CA 072A0D0E
	v_fma_f32 v203, v15, v6, v203                              // 000000011D8C: D1CB00CB 072E0D0F
	v_mfma_f32_16x16x32_fp8_fp8 v[12:15], a[184:185], a[88:89], 0// 000000011D94: D3F3000C 1A02B1B8
	v_mfma_f32_16x16x32_fp8_fp8 v[12:15], a[186:187], a[90:91], v[12:15]// 000000011D9C: D3F3000C 1C32B5BA
	v_mfma_f32_16x16x32_fp8_fp8 v[12:15], a[188:189], a[92:93], v[12:15]// 000000011DA4: D3F3000C 1C32B9BC
	ds_read_b128 a[40:43], v2 offset:2560                      // 000000011DAC: DBFE0A00 28000002
	ds_read_b128 a[44:47], v2 offset:2624                      // 000000011DB4: DBFE0A40 2C000002
	v_mfma_f32_16x16x32_fp8_fp8 v[12:15], a[190:191], a[94:95], v[12:15]// 000000011DBC: D3F3000C 1C32BDBE
	v_fma_f32 v168, v8, v4, v168                               // 000000011DC4: D1CB00A8 06A20908
	v_fma_f32 v169, v9, v4, v169                               // 000000011DCC: D1CB00A9 06A60909
	v_fma_f32 v170, v10, v4, v170                              // 000000011DD4: D1CB00AA 06AA090A
	v_fma_f32 v171, v11, v4, v171                              // 000000011DDC: D1CB00AB 06AE090B
	v_mul_f32_dpp v6, v29, v60 row_newbcast:0 row_mask:0xf bank_mask:0xf// 000000011DE4: 0A0C78FA FF01501D
	v_mfma_f32_16x16x32_fp8_fp8 v[8:11], a[176:177], a[96:97], 0// 000000011DEC: D3F30008 1A02C1B0
	v_mfma_f32_16x16x32_fp8_fp8 v[8:11], a[178:179], a[98:99], v[8:11]// 000000011DF4: D3F30008 1C22C5B2
	v_mfma_f32_16x16x32_fp8_fp8 v[8:11], a[180:181], a[100:101], v[8:11]// 000000011DFC: D3F30008 1C22C9B4
	ds_read_b128 a[48:51], v2 offset:3072                      // 000000011E04: DBFE0C00 30000002
	ds_read_b128 a[52:55], v2 offset:3136                      // 000000011E0C: DBFE0C40 34000002
	v_mfma_f32_16x16x32_fp8_fp8 v[8:11], a[182:183], a[102:103], v[8:11]// 000000011E14: D3F30008 1C22CDB6
	v_fma_f32 v204, v12, v4, v204                              // 000000011E1C: D1CB00CC 0732090C
	v_fma_f32 v205, v13, v4, v205                              // 000000011E24: D1CB00CD 0736090D
	v_fma_f32 v206, v14, v4, v206                              // 000000011E2C: D1CB00CE 073A090E
	v_fma_f32 v207, v15, v4, v207                              // 000000011E34: D1CB00CF 073E090F
	v_mfma_f32_16x16x32_fp8_fp8 v[12:15], a[184:185], a[96:97], 0// 000000011E3C: D3F3000C 1A02C1B8
	v_mfma_f32_16x16x32_fp8_fp8 v[12:15], a[186:187], a[98:99], v[12:15]// 000000011E44: D3F3000C 1C32C5BA
	v_mfma_f32_16x16x32_fp8_fp8 v[12:15], a[188:189], a[100:101], v[12:15]// 000000011E4C: D3F3000C 1C32C9BC
	ds_read_b128 a[56:59], v2 offset:3584                      // 000000011E54: DBFE0E00 38000002
	ds_read_b128 a[60:63], v2 offset:3648                      // 000000011E5C: DBFE0E40 3C000002
	v_mfma_f32_16x16x32_fp8_fp8 v[12:15], a[190:191], a[102:103], v[12:15]// 000000011E64: D3F3000C 1C32CDBE
	v_fma_f32 v172, v8, v6, v172                               // 000000011E6C: D1CB00AC 06B20D08
	v_fma_f32 v173, v9, v6, v173                               // 000000011E74: D1CB00AD 06B60D09
	v_fma_f32 v174, v10, v6, v174                              // 000000011E7C: D1CB00AE 06BA0D0A
	v_fma_f32 v175, v11, v6, v175                              // 000000011E84: D1CB00AF 06BE0D0B
	v_mul_f32_dpp v4, v29, v61 row_newbcast:0 row_mask:0xf bank_mask:0xf// 000000011E8C: 0A087AFA FF01501D
	v_mfma_f32_16x16x32_fp8_fp8 v[8:11], a[176:177], a[104:105], 0// 000000011E94: D3F30008 1A02D1B0
	v_mfma_f32_16x16x32_fp8_fp8 v[8:11], a[178:179], a[106:107], v[8:11]// 000000011E9C: D3F30008 1C22D5B2
	v_mfma_f32_16x16x32_fp8_fp8 v[8:11], a[180:181], a[108:109], v[8:11]// 000000011EA4: D3F30008 1C22D9B4
	ds_read_b128 a[64:67], v2 offset:4096                      // 000000011EAC: DBFE1000 40000002
	ds_read_b128 a[68:71], v2 offset:4160                      // 000000011EB4: DBFE1040 44000002
	v_mfma_f32_16x16x32_fp8_fp8 v[8:11], a[182:183], a[110:111], v[8:11]// 000000011EBC: D3F30008 1C22DDB6
	v_fma_f32 v208, v12, v6, v208                              // 000000011EC4: D1CB00D0 07420D0C
	v_fma_f32 v209, v13, v6, v209                              // 000000011ECC: D1CB00D1 07460D0D
	v_fma_f32 v210, v14, v6, v210                              // 000000011ED4: D1CB00D2 074A0D0E
	v_fma_f32 v211, v15, v6, v211                              // 000000011EDC: D1CB00D3 074E0D0F
	v_mfma_f32_16x16x32_fp8_fp8 v[12:15], a[184:185], a[104:105], 0// 000000011EE4: D3F3000C 1A02D1B8
	v_mfma_f32_16x16x32_fp8_fp8 v[12:15], a[186:187], a[106:107], v[12:15]// 000000011EEC: D3F3000C 1C32D5BA
	v_mfma_f32_16x16x32_fp8_fp8 v[12:15], a[188:189], a[108:109], v[12:15]// 000000011EF4: D3F3000C 1C32D9BC
	v_mfma_f32_16x16x32_fp8_fp8 v[12:15], a[190:191], a[110:111], v[12:15]// 000000011EFC: D3F3000C 1C32DDBE
	v_fma_f32 v176, v8, v4, v176                               // 000000011F04: D1CB00B0 06C20908
	v_fma_f32 v177, v9, v4, v177                               // 000000011F0C: D1CB00B1 06C60909
	v_fma_f32 v178, v10, v4, v178                              // 000000011F14: D1CB00B2 06CA090A
	v_fma_f32 v179, v11, v4, v179                              // 000000011F1C: D1CB00B3 06CE090B
	v_mul_f32_dpp v6, v29, v62 row_newbcast:0 row_mask:0xf bank_mask:0xf// 000000011F24: 0A0C7CFA FF01501D
	v_mfma_f32_16x16x32_fp8_fp8 v[8:11], a[176:177], a[112:113], 0// 000000011F2C: D3F30008 1A02E1B0
	v_mfma_f32_16x16x32_fp8_fp8 v[8:11], a[178:179], a[114:115], v[8:11]// 000000011F34: D3F30008 1C22E5B2
	v_mfma_f32_16x16x32_fp8_fp8 v[8:11], a[180:181], a[116:117], v[8:11]// 000000011F3C: D3F30008 1C22E9B4
	v_mfma_f32_16x16x32_fp8_fp8 v[8:11], a[182:183], a[118:119], v[8:11]// 000000011F44: D3F30008 1C22EDB6
	v_fma_f32 v212, v12, v4, v212                              // 000000011F4C: D1CB00D4 0752090C
	v_fma_f32 v213, v13, v4, v213                              // 000000011F54: D1CB00D5 0756090D
	v_fma_f32 v214, v14, v4, v214                              // 000000011F5C: D1CB00D6 075A090E
	v_fma_f32 v215, v15, v4, v215                              // 000000011F64: D1CB00D7 075E090F
	v_mfma_f32_16x16x32_fp8_fp8 v[12:15], a[184:185], a[112:113], 0// 000000011F6C: D3F3000C 1A02E1B8
	v_mfma_f32_16x16x32_fp8_fp8 v[12:15], a[186:187], a[114:115], v[12:15]// 000000011F74: D3F3000C 1C32E5BA
	v_mfma_f32_16x16x32_fp8_fp8 v[12:15], a[188:189], a[116:117], v[12:15]// 000000011F7C: D3F3000C 1C32E9BC
	v_mfma_f32_16x16x32_fp8_fp8 v[12:15], a[190:191], a[118:119], v[12:15]// 000000011F84: D3F3000C 1C32EDBE
	v_fma_f32 v180, v8, v6, v180                               // 000000011F8C: D1CB00B4 06D20D08
	v_fma_f32 v181, v9, v6, v181                               // 000000011F94: D1CB00B5 06D60D09
	v_fma_f32 v182, v10, v6, v182                              // 000000011F9C: D1CB00B6 06DA0D0A
	v_fma_f32 v183, v11, v6, v183                              // 000000011FA4: D1CB00B7 06DE0D0B
	v_mul_f32_dpp v4, v29, v63 row_newbcast:0 row_mask:0xf bank_mask:0xf// 000000011FAC: 0A087EFA FF01501D
	v_mfma_f32_16x16x32_fp8_fp8 v[8:11], a[176:177], a[120:121], 0// 000000011FB4: D3F30008 1A02F1B0
	v_mfma_f32_16x16x32_fp8_fp8 v[8:11], a[178:179], a[122:123], v[8:11]// 000000011FBC: D3F30008 1C22F5B2
	v_mfma_f32_16x16x32_fp8_fp8 v[8:11], a[180:181], a[124:125], v[8:11]// 000000011FC4: D3F30008 1C22F9B4
	v_mfma_f32_16x16x32_fp8_fp8 v[8:11], a[182:183], a[126:127], v[8:11]// 000000011FCC: D3F30008 1C22FDB6
	v_fma_f32 v216, v12, v6, v216                              // 000000011FD4: D1CB00D8 07620D0C
	v_fma_f32 v217, v13, v6, v217                              // 000000011FDC: D1CB00D9 07660D0D
	v_fma_f32 v218, v14, v6, v218                              // 000000011FE4: D1CB00DA 076A0D0E
	v_fma_f32 v219, v15, v6, v219                              // 000000011FEC: D1CB00DB 076E0D0F
	v_mfma_f32_16x16x32_fp8_fp8 v[12:15], a[184:185], a[120:121], 0// 000000011FF4: D3F3000C 1A02F1B8
	v_mfma_f32_16x16x32_fp8_fp8 v[12:15], a[186:187], a[122:123], v[12:15]// 000000011FFC: D3F3000C 1C32F5BA
	v_mfma_f32_16x16x32_fp8_fp8 v[12:15], a[188:189], a[124:125], v[12:15]// 000000012004: D3F3000C 1C32F9BC
	v_mfma_f32_16x16x32_fp8_fp8 v[12:15], a[190:191], a[126:127], v[12:15]// 00000001200C: D3F3000C 1C32FDBE
	v_fma_f32 v184, v8, v4, v184                               // 000000012014: D1CB00B8 06E20908
	v_fma_f32 v185, v9, v4, v185                               // 00000001201C: D1CB00B9 06E60909
	v_fma_f32 v186, v10, v4, v186                              // 000000012024: D1CB00BA 06EA090A
	v_fma_f32 v187, v11, v4, v187                              // 00000001202C: D1CB00BB 06EE090B
	v_mul_f32_dpp v6, v29, v64 row_newbcast:0 row_mask:0xf bank_mask:0xf// 000000012034: 0A0C80FA FF01501D
	v_mfma_f32_16x16x32_fp8_fp8 v[8:11], a[176:177], a[128:129], 0// 00000001203C: D3F30008 1A0301B0
	v_mfma_f32_16x16x32_fp8_fp8 v[8:11], a[178:179], a[130:131], v[8:11]// 000000012044: D3F30008 1C2305B2
	v_mfma_f32_16x16x32_fp8_fp8 v[8:11], a[180:181], a[132:133], v[8:11]// 00000001204C: D3F30008 1C2309B4
	v_mfma_f32_16x16x32_fp8_fp8 v[8:11], a[182:183], a[134:135], v[8:11]// 000000012054: D3F30008 1C230DB6
	v_fma_f32 v220, v12, v4, v220                              // 00000001205C: D1CB00DC 0772090C
	v_fma_f32 v221, v13, v4, v221                              // 000000012064: D1CB00DD 0776090D
	v_fma_f32 v222, v14, v4, v222                              // 00000001206C: D1CB00DE 077A090E
	v_fma_f32 v223, v15, v4, v223                              // 000000012074: D1CB00DF 077E090F
	v_mfma_f32_16x16x32_fp8_fp8 v[12:15], a[184:185], a[128:129], 0// 00000001207C: D3F3000C 1A0301B8
	v_mfma_f32_16x16x32_fp8_fp8 v[12:15], a[186:187], a[130:131], v[12:15]// 000000012084: D3F3000C 1C3305BA
	v_mfma_f32_16x16x32_fp8_fp8 v[12:15], a[188:189], a[132:133], v[12:15]// 00000001208C: D3F3000C 1C3309BC
	v_mfma_f32_16x16x32_fp8_fp8 v[12:15], a[190:191], a[134:135], v[12:15]// 000000012094: D3F3000C 1C330DBE
	v_fma_f32 v188, v8, v6, v188                               // 00000001209C: D1CB00BC 06F20D08
	v_fma_f32 v189, v9, v6, v189                               // 0000000120A4: D1CB00BD 06F60D09
	v_fma_f32 v190, v10, v6, v190                              // 0000000120AC: D1CB00BE 06FA0D0A
	v_fma_f32 v191, v11, v6, v191                              // 0000000120B4: D1CB00BF 06FE0D0B
	v_mul_f32_dpp v4, v29, v65 row_newbcast:0 row_mask:0xf bank_mask:0xf// 0000000120BC: 0A0882FA FF01501D
	v_mfma_f32_16x16x32_fp8_fp8 v[8:11], a[176:177], a[136:137], 0// 0000000120C4: D3F30008 1A0311B0
	s_add_u32 s60, 0x180, s80                                  // 0000000120CC: 803C50FF 00000180
	s_cmp_lt_u32 s60, s81                                      // 0000000120D4: BF0A513C
	s_cselect_b32 s57, s57, 0                                  // 0000000120D8: 85398039
	s_cselect_b32 s3, s3, 0                                    // 0000000120DC: 85038003
	v_mfma_f32_16x16x32_fp8_fp8 v[8:11], a[178:179], a[138:139], v[8:11]// 0000000120E0: D3F30008 1C2315B2
	s_add_u32 s60, 0x100, s80                                  // 0000000120E8: 803C50FF 00000100
	s_cmp_lt_u32 s60, s81                                      // 0000000120F0: BF0A513C
	s_cselect_b32 s58, s58, 0                                  // 0000000120F4: 853A803A
	v_mfma_f32_16x16x32_fp8_fp8 v[8:11], a[180:181], a[140:141], v[8:11]// 0000000120F8: D3F30008 1C2319B4
	s_add_u32 s60, 0x100, s80                                  // 000000012100: 803C50FF 00000100
	s_cmp_lt_u32 s60, s81                                      // 000000012108: BF0A513C
	s_cselect_b32 s83, s83, 0                                  // 00000001210C: 85538053
	s_cselect_b32 s4, s4, 0                                    // 000000012110: 85048004
	v_mfma_f32_16x16x32_fp8_fp8 v[8:11], a[182:183], a[142:143], v[8:11]// 000000012114: D3F30008 1C231DB6
	s_add_u32 s24, s58, s24                                    // 00000001211C: 8018183A
	s_addc_u32 s25, 0, s25                                     // 000000012120: 82191980
	v_fma_f32 v224, v12, v6, v224                              // 000000012124: D1CB00E0 07820D0C
	v_fma_f32 v225, v13, v6, v225                              // 00000001212C: D1CB00E1 07860D0D
	v_fma_f32 v226, v14, v6, v226                              // 000000012134: D1CB00E2 078A0D0E
	v_fma_f32 v227, v15, v6, v227                              // 00000001213C: D1CB00E3 078E0D0F
	v_mfma_f32_16x16x32_fp8_fp8 v[12:15], a[184:185], a[136:137], 0// 000000012144: D3F3000C 1A0311B8
	s_add_u32 s20, s57, s20                                    // 00000001214C: 80141439
	s_addc_u32 s21, 0, s21                                     // 000000012150: 82151580
	s_add_u32 s28, s3, s28                                     // 000000012154: 801C1C03
	s_addc_u32 s29, 0, s29                                     // 000000012158: 821D1D80
	v_mfma_f32_16x16x32_fp8_fp8 v[12:15], a[186:187], a[138:139], v[12:15]// 00000001215C: D3F3000C 1C3315BA
	s_add_u32 s84, s83, s84                                    // 000000012164: 80545453
	s_addc_u32 s85, 0, s85                                     // 000000012168: 82555580
	v_mfma_f32_16x16x32_fp8_fp8 v[12:15], a[188:189], a[140:141], v[12:15]// 00000001216C: D3F3000C 1C3319BC
	s_add_u32 s32, s4, s32                                     // 000000012174: 80202004
	s_addc_u32 s33, 0, s33                                     // 000000012178: 82212180
	v_mfma_f32_16x16x32_fp8_fp8 v[12:15], a[190:191], a[142:143], v[12:15]// 00000001217C: D3F3000C 1C331DBE
	v_fma_f32 v192, v8, v4, v192                               // 000000012184: D1CB00C0 07020908
	v_fma_f32 v193, v9, v4, v193                               // 00000001218C: D1CB00C1 07060909
	v_fma_f32 v194, v10, v4, v194                              // 000000012194: D1CB00C2 070A090A
	v_fma_f32 v195, v11, v4, v195                              // 00000001219C: D1CB00C3 070E090B
	v_fma_f32 v228, v12, v4, v228                              // 0000000121A4: D1CB00E4 0792090C
	v_fma_f32 v229, v13, v4, v229                              // 0000000121AC: D1CB00E5 0796090D
	v_fma_f32 v230, v14, v4, v230                              // 0000000121B4: D1CB00E6 079A090E
	v_fma_f32 v231, v15, v4, v231                              // 0000000121BC: D1CB00E7 079E090F
	s_addk_i32 s80, 0x80                                       // 0000000121C4: B7500080
	s_cmp_lt_i32 s80, s81                                      // 0000000121C8: BF045150
	s_cbranch_scc0 label_3DF8                                  // 0000000121CC: BF840001
	s_branch label_2B85                                        // 0000000121D0: BF82ED8D

00000000000121d4 <label_3DF8>:
	s_cmp_eq_u32 s88, 0                                        // 0000000121D4: BF068058
	s_cbranch_scc0 label_49FA                                  // 0000000121D8: BF840C00
	s_cmp_eq_u32 s89, 0                                        // 0000000121DC: BF068059
	s_cbranch_scc1 label_40D1                                  // 0000000121E0: BF8502D5
	v_mov_b32_e32 v8, v1                                       // 0000000121E4: 7E100301
	v_mov_b32_e32 v9, v1                                       // 0000000121E8: 7E120301
	s_mov_b32 s60, s6                                          // 0000000121EC: BEBC0006
	s_mov_b32 s61, s6                                          // 0000000121F0: BEBD0006
	v_pk_mul_f32 v[4:5], v[88:89], v[88:89]                    // 0000000121F4: D3B14004 1802B158
	v_pk_mul_f32 v[6:7], v[90:91], v[90:91]                    // 0000000121FC: D3B14006 1802B55A
	v_pk_fma_f32 v[4:5], v[4:5], s[78:79], v[8:9]              // 000000012204: D3B04004 1C209D04
	v_pk_fma_f32 v[6:7], v[6:7], s[78:79], v[8:9]              // 00000001220C: D3B04006 1C209D06
	v_pk_mul_f32 v[4:5], v[4:5], v[88:89]                      // 000000012214: D3B14004 1802B104
	v_pk_mul_f32 v[6:7], v[6:7], v[90:91]                      // 00000001221C: D3B14006 1802B506
	v_pk_mul_f32 v[4:5], v[4:5], s[60:61]                      // 000000012224: D3B14004 18007904
	v_pk_mul_f32 v[6:7], v[6:7], s[60:61]                      // 00000001222C: D3B14006 18007906
	v_exp_f32_e32 v4, v4                                       // 000000012234: 7E084104
	v_exp_f32_e32 v5, v5                                       // 000000012238: 7E0A4105
	v_exp_f32_e32 v6, v6                                       // 00000001223C: 7E0C4106
	v_exp_f32_e32 v7, v7                                       // 000000012240: 7E0E4107
	v_add_f32_e64 v4, v4, 1.0                                  // 000000012244: D1010004 0001E504
	v_add_f32_e64 v5, v5, 1.0                                  // 00000001224C: D1010005 0001E505
	v_add_f32_e64 v6, v6, 1.0                                  // 000000012254: D1010006 0001E506
	v_add_f32_e64 v7, v7, 1.0                                  // 00000001225C: D1010007 0001E507
	v_rcp_f32_e32 v4, v4                                       // 000000012264: 7E084504
	v_rcp_f32_e32 v5, v5                                       // 000000012268: 7E0A4505
	v_rcp_f32_e32 v6, v6                                       // 00000001226C: 7E0C4506
	v_rcp_f32_e32 v7, v7                                       // 000000012270: 7E0E4507
	v_mul_f32_e32 v88, v88, v4                                 // 000000012274: 0AB00958
	v_mul_f32_e32 v89, v89, v5                                 // 000000012278: 0AB20B59
	v_mul_f32_e32 v90, v90, v6                                 // 00000001227C: 0AB40D5A
	v_mul_f32_e32 v91, v91, v7                                 // 000000012280: 0AB60F5B
	v_mul_f32_e32 v88, v88, v160                               // 000000012284: 0AB14158
	v_mul_f32_e32 v89, v89, v161                               // 000000012288: 0AB34359
	v_mul_f32_e32 v90, v90, v162                               // 00000001228C: 0AB5455A
	v_mul_f32_e32 v91, v91, v163                               // 000000012290: 0AB7475B
	v_pk_mul_f32 v[4:5], v[92:93], v[92:93]                    // 000000012294: D3B14004 1802B95C
	v_pk_mul_f32 v[6:7], v[94:95], v[94:95]                    // 00000001229C: D3B14006 1802BD5E
	v_pk_fma_f32 v[4:5], v[4:5], s[78:79], v[8:9]              // 0000000122A4: D3B04004 1C209D04
	v_pk_fma_f32 v[6:7], v[6:7], s[78:79], v[8:9]              // 0000000122AC: D3B04006 1C209D06
	v_pk_mul_f32 v[4:5], v[4:5], v[92:93]                      // 0000000122B4: D3B14004 1802B904
	v_pk_mul_f32 v[6:7], v[6:7], v[94:95]                      // 0000000122BC: D3B14006 1802BD06
	v_pk_mul_f32 v[4:5], v[4:5], s[60:61]                      // 0000000122C4: D3B14004 18007904
	v_pk_mul_f32 v[6:7], v[6:7], s[60:61]                      // 0000000122CC: D3B14006 18007906
	v_exp_f32_e32 v4, v4                                       // 0000000122D4: 7E084104
	v_exp_f32_e32 v5, v5                                       // 0000000122D8: 7E0A4105
	v_exp_f32_e32 v6, v6                                       // 0000000122DC: 7E0C4106
	v_exp_f32_e32 v7, v7                                       // 0000000122E0: 7E0E4107
	v_add_f32_e64 v4, v4, 1.0                                  // 0000000122E4: D1010004 0001E504
	v_add_f32_e64 v5, v5, 1.0                                  // 0000000122EC: D1010005 0001E505
	v_add_f32_e64 v6, v6, 1.0                                  // 0000000122F4: D1010006 0001E506
	v_add_f32_e64 v7, v7, 1.0                                  // 0000000122FC: D1010007 0001E507
	v_rcp_f32_e32 v4, v4                                       // 000000012304: 7E084504
	v_rcp_f32_e32 v5, v5                                       // 000000012308: 7E0A4505
	v_rcp_f32_e32 v6, v6                                       // 00000001230C: 7E0C4506
	v_rcp_f32_e32 v7, v7                                       // 000000012310: 7E0E4507
	v_mul_f32_e32 v92, v92, v4                                 // 000000012314: 0AB8095C
	v_mul_f32_e32 v93, v93, v5                                 // 000000012318: 0ABA0B5D
	v_mul_f32_e32 v94, v94, v6                                 // 00000001231C: 0ABC0D5E
	v_mul_f32_e32 v95, v95, v7                                 // 000000012320: 0ABE0F5F
	v_mul_f32_e32 v92, v92, v164                               // 000000012324: 0AB9495C
	v_mul_f32_e32 v93, v93, v165                               // 000000012328: 0ABB4B5D
	v_mul_f32_e32 v94, v94, v166                               // 00000001232C: 0ABD4D5E
	v_mul_f32_e32 v95, v95, v167                               // 000000012330: 0ABF4F5F
	v_pk_mul_f32 v[4:5], v[96:97], v[96:97]                    // 000000012334: D3B14004 1802C160
	v_pk_mul_f32 v[6:7], v[98:99], v[98:99]                    // 00000001233C: D3B14006 1802C562
	v_pk_fma_f32 v[4:5], v[4:5], s[78:79], v[8:9]              // 000000012344: D3B04004 1C209D04
	v_pk_fma_f32 v[6:7], v[6:7], s[78:79], v[8:9]              // 00000001234C: D3B04006 1C209D06
	v_pk_mul_f32 v[4:5], v[4:5], v[96:97]                      // 000000012354: D3B14004 1802C104
	v_pk_mul_f32 v[6:7], v[6:7], v[98:99]                      // 00000001235C: D3B14006 1802C506
	v_pk_mul_f32 v[4:5], v[4:5], s[60:61]                      // 000000012364: D3B14004 18007904
	v_pk_mul_f32 v[6:7], v[6:7], s[60:61]                      // 00000001236C: D3B14006 18007906
	v_exp_f32_e32 v4, v4                                       // 000000012374: 7E084104
	v_exp_f32_e32 v5, v5                                       // 000000012378: 7E0A4105
	v_exp_f32_e32 v6, v6                                       // 00000001237C: 7E0C4106
	v_exp_f32_e32 v7, v7                                       // 000000012380: 7E0E4107
	v_add_f32_e64 v4, v4, 1.0                                  // 000000012384: D1010004 0001E504
	v_add_f32_e64 v5, v5, 1.0                                  // 00000001238C: D1010005 0001E505
	v_add_f32_e64 v6, v6, 1.0                                  // 000000012394: D1010006 0001E506
	v_add_f32_e64 v7, v7, 1.0                                  // 00000001239C: D1010007 0001E507
	v_rcp_f32_e32 v4, v4                                       // 0000000123A4: 7E084504
	v_rcp_f32_e32 v5, v5                                       // 0000000123A8: 7E0A4505
	v_rcp_f32_e32 v6, v6                                       // 0000000123AC: 7E0C4506
	v_rcp_f32_e32 v7, v7                                       // 0000000123B0: 7E0E4507
	v_mul_f32_e32 v96, v96, v4                                 // 0000000123B4: 0AC00960
	v_mul_f32_e32 v97, v97, v5                                 // 0000000123B8: 0AC20B61
	v_mul_f32_e32 v98, v98, v6                                 // 0000000123BC: 0AC40D62
	v_mul_f32_e32 v99, v99, v7                                 // 0000000123C0: 0AC60F63
	v_mul_f32_e32 v96, v96, v168                               // 0000000123C4: 0AC15160
	v_mul_f32_e32 v97, v97, v169                               // 0000000123C8: 0AC35361
	v_mul_f32_e32 v98, v98, v170                               // 0000000123CC: 0AC55562
	v_mul_f32_e32 v99, v99, v171                               // 0000000123D0: 0AC75763
	v_pk_mul_f32 v[4:5], v[100:101], v[100:101]                // 0000000123D4: D3B14004 1802C964
	v_pk_mul_f32 v[6:7], v[102:103], v[102:103]                // 0000000123DC: D3B14006 1802CD66
	v_pk_fma_f32 v[4:5], v[4:5], s[78:79], v[8:9]              // 0000000123E4: D3B04004 1C209D04
	v_pk_fma_f32 v[6:7], v[6:7], s[78:79], v[8:9]              // 0000000123EC: D3B04006 1C209D06
	v_pk_mul_f32 v[4:5], v[4:5], v[100:101]                    // 0000000123F4: D3B14004 1802C904
	v_pk_mul_f32 v[6:7], v[6:7], v[102:103]                    // 0000000123FC: D3B14006 1802CD06
	v_pk_mul_f32 v[4:5], v[4:5], s[60:61]                      // 000000012404: D3B14004 18007904
	v_pk_mul_f32 v[6:7], v[6:7], s[60:61]                      // 00000001240C: D3B14006 18007906
	v_exp_f32_e32 v4, v4                                       // 000000012414: 7E084104
	v_exp_f32_e32 v5, v5                                       // 000000012418: 7E0A4105
	v_exp_f32_e32 v6, v6                                       // 00000001241C: 7E0C4106
	v_exp_f32_e32 v7, v7                                       // 000000012420: 7E0E4107
	v_add_f32_e64 v4, v4, 1.0                                  // 000000012424: D1010004 0001E504
	v_add_f32_e64 v5, v5, 1.0                                  // 00000001242C: D1010005 0001E505
	v_add_f32_e64 v6, v6, 1.0                                  // 000000012434: D1010006 0001E506
	v_add_f32_e64 v7, v7, 1.0                                  // 00000001243C: D1010007 0001E507
	v_rcp_f32_e32 v4, v4                                       // 000000012444: 7E084504
	v_rcp_f32_e32 v5, v5                                       // 000000012448: 7E0A4505
	v_rcp_f32_e32 v6, v6                                       // 00000001244C: 7E0C4506
	v_rcp_f32_e32 v7, v7                                       // 000000012450: 7E0E4507
	v_mul_f32_e32 v100, v100, v4                               // 000000012454: 0AC80964
	v_mul_f32_e32 v101, v101, v5                               // 000000012458: 0ACA0B65
	v_mul_f32_e32 v102, v102, v6                               // 00000001245C: 0ACC0D66
	v_mul_f32_e32 v103, v103, v7                               // 000000012460: 0ACE0F67
	v_mul_f32_e32 v100, v100, v172                             // 000000012464: 0AC95964
	v_mul_f32_e32 v101, v101, v173                             // 000000012468: 0ACB5B65
	v_mul_f32_e32 v102, v102, v174                             // 00000001246C: 0ACD5D66
	v_mul_f32_e32 v103, v103, v175                             // 000000012470: 0ACF5F67
	v_pk_mul_f32 v[4:5], v[104:105], v[104:105]                // 000000012474: D3B14004 1802D168
	v_pk_mul_f32 v[6:7], v[106:107], v[106:107]                // 00000001247C: D3B14006 1802D56A
	v_pk_fma_f32 v[4:5], v[4:5], s[78:79], v[8:9]              // 000000012484: D3B04004 1C209D04
	v_pk_fma_f32 v[6:7], v[6:7], s[78:79], v[8:9]              // 00000001248C: D3B04006 1C209D06
	v_pk_mul_f32 v[4:5], v[4:5], v[104:105]                    // 000000012494: D3B14004 1802D104
	v_pk_mul_f32 v[6:7], v[6:7], v[106:107]                    // 00000001249C: D3B14006 1802D506
	v_pk_mul_f32 v[4:5], v[4:5], s[60:61]                      // 0000000124A4: D3B14004 18007904
	v_pk_mul_f32 v[6:7], v[6:7], s[60:61]                      // 0000000124AC: D3B14006 18007906
	v_exp_f32_e32 v4, v4                                       // 0000000124B4: 7E084104
	v_exp_f32_e32 v5, v5                                       // 0000000124B8: 7E0A4105
	v_exp_f32_e32 v6, v6                                       // 0000000124BC: 7E0C4106
	v_exp_f32_e32 v7, v7                                       // 0000000124C0: 7E0E4107
	v_add_f32_e64 v4, v4, 1.0                                  // 0000000124C4: D1010004 0001E504
	v_add_f32_e64 v5, v5, 1.0                                  // 0000000124CC: D1010005 0001E505
	v_add_f32_e64 v6, v6, 1.0                                  // 0000000124D4: D1010006 0001E506
	v_add_f32_e64 v7, v7, 1.0                                  // 0000000124DC: D1010007 0001E507
	v_rcp_f32_e32 v4, v4                                       // 0000000124E4: 7E084504
	v_rcp_f32_e32 v5, v5                                       // 0000000124E8: 7E0A4505
	v_rcp_f32_e32 v6, v6                                       // 0000000124EC: 7E0C4506
	v_rcp_f32_e32 v7, v7                                       // 0000000124F0: 7E0E4507
	v_mul_f32_e32 v104, v104, v4                               // 0000000124F4: 0AD00968
	v_mul_f32_e32 v105, v105, v5                               // 0000000124F8: 0AD20B69
	v_mul_f32_e32 v106, v106, v6                               // 0000000124FC: 0AD40D6A
	v_mul_f32_e32 v107, v107, v7                               // 000000012500: 0AD60F6B
	v_mul_f32_e32 v104, v104, v176                             // 000000012504: 0AD16168
	v_mul_f32_e32 v105, v105, v177                             // 000000012508: 0AD36369
	v_mul_f32_e32 v106, v106, v178                             // 00000001250C: 0AD5656A
	v_mul_f32_e32 v107, v107, v179                             // 000000012510: 0AD7676B
	v_pk_mul_f32 v[4:5], v[108:109], v[108:109]                // 000000012514: D3B14004 1802D96C
	v_pk_mul_f32 v[6:7], v[110:111], v[110:111]                // 00000001251C: D3B14006 1802DD6E
	v_pk_fma_f32 v[4:5], v[4:5], s[78:79], v[8:9]              // 000000012524: D3B04004 1C209D04
	v_pk_fma_f32 v[6:7], v[6:7], s[78:79], v[8:9]              // 00000001252C: D3B04006 1C209D06
	v_pk_mul_f32 v[4:5], v[4:5], v[108:109]                    // 000000012534: D3B14004 1802D904
	v_pk_mul_f32 v[6:7], v[6:7], v[110:111]                    // 00000001253C: D3B14006 1802DD06
	v_pk_mul_f32 v[4:5], v[4:5], s[60:61]                      // 000000012544: D3B14004 18007904
	v_pk_mul_f32 v[6:7], v[6:7], s[60:61]                      // 00000001254C: D3B14006 18007906
	v_exp_f32_e32 v4, v4                                       // 000000012554: 7E084104
	v_exp_f32_e32 v5, v5                                       // 000000012558: 7E0A4105
	v_exp_f32_e32 v6, v6                                       // 00000001255C: 7E0C4106
	v_exp_f32_e32 v7, v7                                       // 000000012560: 7E0E4107
	v_add_f32_e64 v4, v4, 1.0                                  // 000000012564: D1010004 0001E504
	v_add_f32_e64 v5, v5, 1.0                                  // 00000001256C: D1010005 0001E505
	v_add_f32_e64 v6, v6, 1.0                                  // 000000012574: D1010006 0001E506
	v_add_f32_e64 v7, v7, 1.0                                  // 00000001257C: D1010007 0001E507
	v_rcp_f32_e32 v4, v4                                       // 000000012584: 7E084504
	v_rcp_f32_e32 v5, v5                                       // 000000012588: 7E0A4505
	v_rcp_f32_e32 v6, v6                                       // 00000001258C: 7E0C4506
	v_rcp_f32_e32 v7, v7                                       // 000000012590: 7E0E4507
	v_mul_f32_e32 v108, v108, v4                               // 000000012594: 0AD8096C
	v_mul_f32_e32 v109, v109, v5                               // 000000012598: 0ADA0B6D
	v_mul_f32_e32 v110, v110, v6                               // 00000001259C: 0ADC0D6E
	v_mul_f32_e32 v111, v111, v7                               // 0000000125A0: 0ADE0F6F
	v_mul_f32_e32 v108, v108, v180                             // 0000000125A4: 0AD9696C
	v_mul_f32_e32 v109, v109, v181                             // 0000000125A8: 0ADB6B6D
	v_mul_f32_e32 v110, v110, v182                             // 0000000125AC: 0ADD6D6E
	v_mul_f32_e32 v111, v111, v183                             // 0000000125B0: 0ADF6F6F
	v_pk_mul_f32 v[4:5], v[112:113], v[112:113]                // 0000000125B4: D3B14004 1802E170
	v_pk_mul_f32 v[6:7], v[114:115], v[114:115]                // 0000000125BC: D3B14006 1802E572
	v_pk_fma_f32 v[4:5], v[4:5], s[78:79], v[8:9]              // 0000000125C4: D3B04004 1C209D04
	v_pk_fma_f32 v[6:7], v[6:7], s[78:79], v[8:9]              // 0000000125CC: D3B04006 1C209D06
	v_pk_mul_f32 v[4:5], v[4:5], v[112:113]                    // 0000000125D4: D3B14004 1802E104
	v_pk_mul_f32 v[6:7], v[6:7], v[114:115]                    // 0000000125DC: D3B14006 1802E506
	v_pk_mul_f32 v[4:5], v[4:5], s[60:61]                      // 0000000125E4: D3B14004 18007904
	v_pk_mul_f32 v[6:7], v[6:7], s[60:61]                      // 0000000125EC: D3B14006 18007906
	v_exp_f32_e32 v4, v4                                       // 0000000125F4: 7E084104
	v_exp_f32_e32 v5, v5                                       // 0000000125F8: 7E0A4105
	v_exp_f32_e32 v6, v6                                       // 0000000125FC: 7E0C4106
	v_exp_f32_e32 v7, v7                                       // 000000012600: 7E0E4107
	v_add_f32_e64 v4, v4, 1.0                                  // 000000012604: D1010004 0001E504
	v_add_f32_e64 v5, v5, 1.0                                  // 00000001260C: D1010005 0001E505
	v_add_f32_e64 v6, v6, 1.0                                  // 000000012614: D1010006 0001E506
	v_add_f32_e64 v7, v7, 1.0                                  // 00000001261C: D1010007 0001E507
	v_rcp_f32_e32 v4, v4                                       // 000000012624: 7E084504
	v_rcp_f32_e32 v5, v5                                       // 000000012628: 7E0A4505
	v_rcp_f32_e32 v6, v6                                       // 00000001262C: 7E0C4506
	v_rcp_f32_e32 v7, v7                                       // 000000012630: 7E0E4507
	v_mul_f32_e32 v112, v112, v4                               // 000000012634: 0AE00970
	v_mul_f32_e32 v113, v113, v5                               // 000000012638: 0AE20B71
	v_mul_f32_e32 v114, v114, v6                               // 00000001263C: 0AE40D72
	v_mul_f32_e32 v115, v115, v7                               // 000000012640: 0AE60F73
	v_mul_f32_e32 v112, v112, v184                             // 000000012644: 0AE17170
	v_mul_f32_e32 v113, v113, v185                             // 000000012648: 0AE37371
	v_mul_f32_e32 v114, v114, v186                             // 00000001264C: 0AE57572
	v_mul_f32_e32 v115, v115, v187                             // 000000012650: 0AE77773
	v_pk_mul_f32 v[4:5], v[116:117], v[116:117]                // 000000012654: D3B14004 1802E974
	v_pk_mul_f32 v[6:7], v[118:119], v[118:119]                // 00000001265C: D3B14006 1802ED76
	v_pk_fma_f32 v[4:5], v[4:5], s[78:79], v[8:9]              // 000000012664: D3B04004 1C209D04
	v_pk_fma_f32 v[6:7], v[6:7], s[78:79], v[8:9]              // 00000001266C: D3B04006 1C209D06
	v_pk_mul_f32 v[4:5], v[4:5], v[116:117]                    // 000000012674: D3B14004 1802E904
	v_pk_mul_f32 v[6:7], v[6:7], v[118:119]                    // 00000001267C: D3B14006 1802ED06
	v_pk_mul_f32 v[4:5], v[4:5], s[60:61]                      // 000000012684: D3B14004 18007904
	v_pk_mul_f32 v[6:7], v[6:7], s[60:61]                      // 00000001268C: D3B14006 18007906
	v_exp_f32_e32 v4, v4                                       // 000000012694: 7E084104
	v_exp_f32_e32 v5, v5                                       // 000000012698: 7E0A4105
	v_exp_f32_e32 v6, v6                                       // 00000001269C: 7E0C4106
	v_exp_f32_e32 v7, v7                                       // 0000000126A0: 7E0E4107
	v_add_f32_e64 v4, v4, 1.0                                  // 0000000126A4: D1010004 0001E504
	v_add_f32_e64 v5, v5, 1.0                                  // 0000000126AC: D1010005 0001E505
	v_add_f32_e64 v6, v6, 1.0                                  // 0000000126B4: D1010006 0001E506
	v_add_f32_e64 v7, v7, 1.0                                  // 0000000126BC: D1010007 0001E507
	v_rcp_f32_e32 v4, v4                                       // 0000000126C4: 7E084504
	v_rcp_f32_e32 v5, v5                                       // 0000000126C8: 7E0A4505
	v_rcp_f32_e32 v6, v6                                       // 0000000126CC: 7E0C4506
	v_rcp_f32_e32 v7, v7                                       // 0000000126D0: 7E0E4507
	v_mul_f32_e32 v116, v116, v4                               // 0000000126D4: 0AE80974
	v_mul_f32_e32 v117, v117, v5                               // 0000000126D8: 0AEA0B75
	v_mul_f32_e32 v118, v118, v6                               // 0000000126DC: 0AEC0D76
	v_mul_f32_e32 v119, v119, v7                               // 0000000126E0: 0AEE0F77
	v_mul_f32_e32 v116, v116, v188                             // 0000000126E4: 0AE97974
	v_mul_f32_e32 v117, v117, v189                             // 0000000126E8: 0AEB7B75
	v_mul_f32_e32 v118, v118, v190                             // 0000000126EC: 0AED7D76
	v_mul_f32_e32 v119, v119, v191                             // 0000000126F0: 0AEF7F77
	v_pk_mul_f32 v[4:5], v[120:121], v[120:121]                // 0000000126F4: D3B14004 1802F178
	v_pk_mul_f32 v[6:7], v[122:123], v[122:123]                // 0000000126FC: D3B14006 1802F57A
	v_pk_fma_f32 v[4:5], v[4:5], s[78:79], v[8:9]              // 000000012704: D3B04004 1C209D04
	v_pk_fma_f32 v[6:7], v[6:7], s[78:79], v[8:9]              // 00000001270C: D3B04006 1C209D06
	v_pk_mul_f32 v[4:5], v[4:5], v[120:121]                    // 000000012714: D3B14004 1802F104
	v_pk_mul_f32 v[6:7], v[6:7], v[122:123]                    // 00000001271C: D3B14006 1802F506
	v_pk_mul_f32 v[4:5], v[4:5], s[60:61]                      // 000000012724: D3B14004 18007904
	v_pk_mul_f32 v[6:7], v[6:7], s[60:61]                      // 00000001272C: D3B14006 18007906
	v_exp_f32_e32 v4, v4                                       // 000000012734: 7E084104
	v_exp_f32_e32 v5, v5                                       // 000000012738: 7E0A4105
	v_exp_f32_e32 v6, v6                                       // 00000001273C: 7E0C4106
	v_exp_f32_e32 v7, v7                                       // 000000012740: 7E0E4107
	v_add_f32_e64 v4, v4, 1.0                                  // 000000012744: D1010004 0001E504
	v_add_f32_e64 v5, v5, 1.0                                  // 00000001274C: D1010005 0001E505
	v_add_f32_e64 v6, v6, 1.0                                  // 000000012754: D1010006 0001E506
	v_add_f32_e64 v7, v7, 1.0                                  // 00000001275C: D1010007 0001E507
	v_rcp_f32_e32 v4, v4                                       // 000000012764: 7E084504
	v_rcp_f32_e32 v5, v5                                       // 000000012768: 7E0A4505
	v_rcp_f32_e32 v6, v6                                       // 00000001276C: 7E0C4506
	v_rcp_f32_e32 v7, v7                                       // 000000012770: 7E0E4507
	v_mul_f32_e32 v120, v120, v4                               // 000000012774: 0AF00978
	v_mul_f32_e32 v121, v121, v5                               // 000000012778: 0AF20B79
	v_mul_f32_e32 v122, v122, v6                               // 00000001277C: 0AF40D7A
	v_mul_f32_e32 v123, v123, v7                               // 000000012780: 0AF60F7B
	v_mul_f32_e32 v120, v120, v192                             // 000000012784: 0AF18178
	v_mul_f32_e32 v121, v121, v193                             // 000000012788: 0AF38379
	v_mul_f32_e32 v122, v122, v194                             // 00000001278C: 0AF5857A
	v_mul_f32_e32 v123, v123, v195                             // 000000012790: 0AF7877B
	v_pk_mul_f32 v[4:5], v[124:125], v[124:125]                // 000000012794: D3B14004 1802F97C
	v_pk_mul_f32 v[6:7], v[126:127], v[126:127]                // 00000001279C: D3B14006 1802FD7E
	v_pk_fma_f32 v[4:5], v[4:5], s[78:79], v[8:9]              // 0000000127A4: D3B04004 1C209D04
	v_pk_fma_f32 v[6:7], v[6:7], s[78:79], v[8:9]              // 0000000127AC: D3B04006 1C209D06
	v_pk_mul_f32 v[4:5], v[4:5], v[124:125]                    // 0000000127B4: D3B14004 1802F904
	v_pk_mul_f32 v[6:7], v[6:7], v[126:127]                    // 0000000127BC: D3B14006 1802FD06
	v_pk_mul_f32 v[4:5], v[4:5], s[60:61]                      // 0000000127C4: D3B14004 18007904
	v_pk_mul_f32 v[6:7], v[6:7], s[60:61]                      // 0000000127CC: D3B14006 18007906
	v_exp_f32_e32 v4, v4                                       // 0000000127D4: 7E084104
	v_exp_f32_e32 v5, v5                                       // 0000000127D8: 7E0A4105
	v_exp_f32_e32 v6, v6                                       // 0000000127DC: 7E0C4106
	v_exp_f32_e32 v7, v7                                       // 0000000127E0: 7E0E4107
	v_add_f32_e64 v4, v4, 1.0                                  // 0000000127E4: D1010004 0001E504
	v_add_f32_e64 v5, v5, 1.0                                  // 0000000127EC: D1010005 0001E505
	v_add_f32_e64 v6, v6, 1.0                                  // 0000000127F4: D1010006 0001E506
	v_add_f32_e64 v7, v7, 1.0                                  // 0000000127FC: D1010007 0001E507
	v_rcp_f32_e32 v4, v4                                       // 000000012804: 7E084504
	v_rcp_f32_e32 v5, v5                                       // 000000012808: 7E0A4505
	v_rcp_f32_e32 v6, v6                                       // 00000001280C: 7E0C4506
	v_rcp_f32_e32 v7, v7                                       // 000000012810: 7E0E4507
	v_mul_f32_e32 v124, v124, v4                               // 000000012814: 0AF8097C
	v_mul_f32_e32 v125, v125, v5                               // 000000012818: 0AFA0B7D
	v_mul_f32_e32 v126, v126, v6                               // 00000001281C: 0AFC0D7E
	v_mul_f32_e32 v127, v127, v7                               // 000000012820: 0AFE0F7F
	v_mul_f32_e32 v124, v124, v196                             // 000000012824: 0AF9897C
	v_mul_f32_e32 v125, v125, v197                             // 000000012828: 0AFB8B7D
	v_mul_f32_e32 v126, v126, v198                             // 00000001282C: 0AFD8D7E
	v_mul_f32_e32 v127, v127, v199                             // 000000012830: 0AFF8F7F
	v_pk_mul_f32 v[4:5], v[128:129], v[128:129]                // 000000012834: D3B14004 18030180
	v_pk_mul_f32 v[6:7], v[130:131], v[130:131]                // 00000001283C: D3B14006 18030582
	v_pk_fma_f32 v[4:5], v[4:5], s[78:79], v[8:9]              // 000000012844: D3B04004 1C209D04
	v_pk_fma_f32 v[6:7], v[6:7], s[78:79], v[8:9]              // 00000001284C: D3B04006 1C209D06
	v_pk_mul_f32 v[4:5], v[4:5], v[128:129]                    // 000000012854: D3B14004 18030104
	v_pk_mul_f32 v[6:7], v[6:7], v[130:131]                    // 00000001285C: D3B14006 18030506
	v_pk_mul_f32 v[4:5], v[4:5], s[60:61]                      // 000000012864: D3B14004 18007904
	v_pk_mul_f32 v[6:7], v[6:7], s[60:61]                      // 00000001286C: D3B14006 18007906
	v_exp_f32_e32 v4, v4                                       // 000000012874: 7E084104
	v_exp_f32_e32 v5, v5                                       // 000000012878: 7E0A4105
	v_exp_f32_e32 v6, v6                                       // 00000001287C: 7E0C4106
	v_exp_f32_e32 v7, v7                                       // 000000012880: 7E0E4107
	v_add_f32_e64 v4, v4, 1.0                                  // 000000012884: D1010004 0001E504
	v_add_f32_e64 v5, v5, 1.0                                  // 00000001288C: D1010005 0001E505
	v_add_f32_e64 v6, v6, 1.0                                  // 000000012894: D1010006 0001E506
	v_add_f32_e64 v7, v7, 1.0                                  // 00000001289C: D1010007 0001E507
	v_rcp_f32_e32 v4, v4                                       // 0000000128A4: 7E084504
	v_rcp_f32_e32 v5, v5                                       // 0000000128A8: 7E0A4505
	v_rcp_f32_e32 v6, v6                                       // 0000000128AC: 7E0C4506
	v_rcp_f32_e32 v7, v7                                       // 0000000128B0: 7E0E4507
	v_mul_f32_e32 v128, v128, v4                               // 0000000128B4: 0B000980
	v_mul_f32_e32 v129, v129, v5                               // 0000000128B8: 0B020B81
	v_mul_f32_e32 v130, v130, v6                               // 0000000128BC: 0B040D82
	v_mul_f32_e32 v131, v131, v7                               // 0000000128C0: 0B060F83
	v_mul_f32_e32 v128, v128, v200                             // 0000000128C4: 0B019180
	v_mul_f32_e32 v129, v129, v201                             // 0000000128C8: 0B039381
	v_mul_f32_e32 v130, v130, v202                             // 0000000128CC: 0B059582
	v_mul_f32_e32 v131, v131, v203                             // 0000000128D0: 0B079783
	v_pk_mul_f32 v[4:5], v[132:133], v[132:133]                // 0000000128D4: D3B14004 18030984
	v_pk_mul_f32 v[6:7], v[134:135], v[134:135]                // 0000000128DC: D3B14006 18030D86
	v_pk_fma_f32 v[4:5], v[4:5], s[78:79], v[8:9]              // 0000000128E4: D3B04004 1C209D04
	v_pk_fma_f32 v[6:7], v[6:7], s[78:79], v[8:9]              // 0000000128EC: D3B04006 1C209D06
	v_pk_mul_f32 v[4:5], v[4:5], v[132:133]                    // 0000000128F4: D3B14004 18030904
	v_pk_mul_f32 v[6:7], v[6:7], v[134:135]                    // 0000000128FC: D3B14006 18030D06
	v_pk_mul_f32 v[4:5], v[4:5], s[60:61]                      // 000000012904: D3B14004 18007904
	v_pk_mul_f32 v[6:7], v[6:7], s[60:61]                      // 00000001290C: D3B14006 18007906
	v_exp_f32_e32 v4, v4                                       // 000000012914: 7E084104
	v_exp_f32_e32 v5, v5                                       // 000000012918: 7E0A4105
	v_exp_f32_e32 v6, v6                                       // 00000001291C: 7E0C4106
	v_exp_f32_e32 v7, v7                                       // 000000012920: 7E0E4107
	v_add_f32_e64 v4, v4, 1.0                                  // 000000012924: D1010004 0001E504
	v_add_f32_e64 v5, v5, 1.0                                  // 00000001292C: D1010005 0001E505
	v_add_f32_e64 v6, v6, 1.0                                  // 000000012934: D1010006 0001E506
	v_add_f32_e64 v7, v7, 1.0                                  // 00000001293C: D1010007 0001E507
	v_rcp_f32_e32 v4, v4                                       // 000000012944: 7E084504
	v_rcp_f32_e32 v5, v5                                       // 000000012948: 7E0A4505
	v_rcp_f32_e32 v6, v6                                       // 00000001294C: 7E0C4506
	v_rcp_f32_e32 v7, v7                                       // 000000012950: 7E0E4507
	v_mul_f32_e32 v132, v132, v4                               // 000000012954: 0B080984
	v_mul_f32_e32 v133, v133, v5                               // 000000012958: 0B0A0B85
	v_mul_f32_e32 v134, v134, v6                               // 00000001295C: 0B0C0D86
	v_mul_f32_e32 v135, v135, v7                               // 000000012960: 0B0E0F87
	v_mul_f32_e32 v132, v132, v204                             // 000000012964: 0B099984
	v_mul_f32_e32 v133, v133, v205                             // 000000012968: 0B0B9B85
	v_mul_f32_e32 v134, v134, v206                             // 00000001296C: 0B0D9D86
	v_mul_f32_e32 v135, v135, v207                             // 000000012970: 0B0F9F87
	v_pk_mul_f32 v[4:5], v[136:137], v[136:137]                // 000000012974: D3B14004 18031188
	v_pk_mul_f32 v[6:7], v[138:139], v[138:139]                // 00000001297C: D3B14006 1803158A
	v_pk_fma_f32 v[4:5], v[4:5], s[78:79], v[8:9]              // 000000012984: D3B04004 1C209D04
	v_pk_fma_f32 v[6:7], v[6:7], s[78:79], v[8:9]              // 00000001298C: D3B04006 1C209D06
	v_pk_mul_f32 v[4:5], v[4:5], v[136:137]                    // 000000012994: D3B14004 18031104
	v_pk_mul_f32 v[6:7], v[6:7], v[138:139]                    // 00000001299C: D3B14006 18031506
	v_pk_mul_f32 v[4:5], v[4:5], s[60:61]                      // 0000000129A4: D3B14004 18007904
	v_pk_mul_f32 v[6:7], v[6:7], s[60:61]                      // 0000000129AC: D3B14006 18007906
	v_exp_f32_e32 v4, v4                                       // 0000000129B4: 7E084104
	v_exp_f32_e32 v5, v5                                       // 0000000129B8: 7E0A4105
	v_exp_f32_e32 v6, v6                                       // 0000000129BC: 7E0C4106
	v_exp_f32_e32 v7, v7                                       // 0000000129C0: 7E0E4107
	v_add_f32_e64 v4, v4, 1.0                                  // 0000000129C4: D1010004 0001E504
	v_add_f32_e64 v5, v5, 1.0                                  // 0000000129CC: D1010005 0001E505
	v_add_f32_e64 v6, v6, 1.0                                  // 0000000129D4: D1010006 0001E506
	v_add_f32_e64 v7, v7, 1.0                                  // 0000000129DC: D1010007 0001E507
	v_rcp_f32_e32 v4, v4                                       // 0000000129E4: 7E084504
	v_rcp_f32_e32 v5, v5                                       // 0000000129E8: 7E0A4505
	v_rcp_f32_e32 v6, v6                                       // 0000000129EC: 7E0C4506
	v_rcp_f32_e32 v7, v7                                       // 0000000129F0: 7E0E4507
	v_mul_f32_e32 v136, v136, v4                               // 0000000129F4: 0B100988
	v_mul_f32_e32 v137, v137, v5                               // 0000000129F8: 0B120B89
	v_mul_f32_e32 v138, v138, v6                               // 0000000129FC: 0B140D8A
	v_mul_f32_e32 v139, v139, v7                               // 000000012A00: 0B160F8B
	v_mul_f32_e32 v136, v136, v208                             // 000000012A04: 0B11A188
	v_mul_f32_e32 v137, v137, v209                             // 000000012A08: 0B13A389
	v_mul_f32_e32 v138, v138, v210                             // 000000012A0C: 0B15A58A
	v_mul_f32_e32 v139, v139, v211                             // 000000012A10: 0B17A78B
	v_pk_mul_f32 v[4:5], v[140:141], v[140:141]                // 000000012A14: D3B14004 1803198C
	v_pk_mul_f32 v[6:7], v[142:143], v[142:143]                // 000000012A1C: D3B14006 18031D8E
	v_pk_fma_f32 v[4:5], v[4:5], s[78:79], v[8:9]              // 000000012A24: D3B04004 1C209D04
	v_pk_fma_f32 v[6:7], v[6:7], s[78:79], v[8:9]              // 000000012A2C: D3B04006 1C209D06
	v_pk_mul_f32 v[4:5], v[4:5], v[140:141]                    // 000000012A34: D3B14004 18031904
	v_pk_mul_f32 v[6:7], v[6:7], v[142:143]                    // 000000012A3C: D3B14006 18031D06
	v_pk_mul_f32 v[4:5], v[4:5], s[60:61]                      // 000000012A44: D3B14004 18007904
	v_pk_mul_f32 v[6:7], v[6:7], s[60:61]                      // 000000012A4C: D3B14006 18007906
	v_exp_f32_e32 v4, v4                                       // 000000012A54: 7E084104
	v_exp_f32_e32 v5, v5                                       // 000000012A58: 7E0A4105
	v_exp_f32_e32 v6, v6                                       // 000000012A5C: 7E0C4106
	v_exp_f32_e32 v7, v7                                       // 000000012A60: 7E0E4107
	v_add_f32_e64 v4, v4, 1.0                                  // 000000012A64: D1010004 0001E504
	v_add_f32_e64 v5, v5, 1.0                                  // 000000012A6C: D1010005 0001E505
	v_add_f32_e64 v6, v6, 1.0                                  // 000000012A74: D1010006 0001E506
	v_add_f32_e64 v7, v7, 1.0                                  // 000000012A7C: D1010007 0001E507
	v_rcp_f32_e32 v4, v4                                       // 000000012A84: 7E084504
	v_rcp_f32_e32 v5, v5                                       // 000000012A88: 7E0A4505
	v_rcp_f32_e32 v6, v6                                       // 000000012A8C: 7E0C4506
	v_rcp_f32_e32 v7, v7                                       // 000000012A90: 7E0E4507
	v_mul_f32_e32 v140, v140, v4                               // 000000012A94: 0B18098C
	v_mul_f32_e32 v141, v141, v5                               // 000000012A98: 0B1A0B8D
	v_mul_f32_e32 v142, v142, v6                               // 000000012A9C: 0B1C0D8E
	v_mul_f32_e32 v143, v143, v7                               // 000000012AA0: 0B1E0F8F
	v_mul_f32_e32 v140, v140, v212                             // 000000012AA4: 0B19A98C
	v_mul_f32_e32 v141, v141, v213                             // 000000012AA8: 0B1BAB8D
	v_mul_f32_e32 v142, v142, v214                             // 000000012AAC: 0B1DAD8E
	v_mul_f32_e32 v143, v143, v215                             // 000000012AB0: 0B1FAF8F
	v_pk_mul_f32 v[4:5], v[144:145], v[144:145]                // 000000012AB4: D3B14004 18032190
	v_pk_mul_f32 v[6:7], v[146:147], v[146:147]                // 000000012ABC: D3B14006 18032592
	v_pk_fma_f32 v[4:5], v[4:5], s[78:79], v[8:9]              // 000000012AC4: D3B04004 1C209D04
	v_pk_fma_f32 v[6:7], v[6:7], s[78:79], v[8:9]              // 000000012ACC: D3B04006 1C209D06
	v_pk_mul_f32 v[4:5], v[4:5], v[144:145]                    // 000000012AD4: D3B14004 18032104
	v_pk_mul_f32 v[6:7], v[6:7], v[146:147]                    // 000000012ADC: D3B14006 18032506
	v_pk_mul_f32 v[4:5], v[4:5], s[60:61]                      // 000000012AE4: D3B14004 18007904
	v_pk_mul_f32 v[6:7], v[6:7], s[60:61]                      // 000000012AEC: D3B14006 18007906
	v_exp_f32_e32 v4, v4                                       // 000000012AF4: 7E084104
	v_exp_f32_e32 v5, v5                                       // 000000012AF8: 7E0A4105
	v_exp_f32_e32 v6, v6                                       // 000000012AFC: 7E0C4106
	v_exp_f32_e32 v7, v7                                       // 000000012B00: 7E0E4107
	v_add_f32_e64 v4, v4, 1.0                                  // 000000012B04: D1010004 0001E504
	v_add_f32_e64 v5, v5, 1.0                                  // 000000012B0C: D1010005 0001E505
	v_add_f32_e64 v6, v6, 1.0                                  // 000000012B14: D1010006 0001E506
	v_add_f32_e64 v7, v7, 1.0                                  // 000000012B1C: D1010007 0001E507
	v_rcp_f32_e32 v4, v4                                       // 000000012B24: 7E084504
	v_rcp_f32_e32 v5, v5                                       // 000000012B28: 7E0A4505
	v_rcp_f32_e32 v6, v6                                       // 000000012B2C: 7E0C4506
	v_rcp_f32_e32 v7, v7                                       // 000000012B30: 7E0E4507
	v_mul_f32_e32 v144, v144, v4                               // 000000012B34: 0B200990
	v_mul_f32_e32 v145, v145, v5                               // 000000012B38: 0B220B91
	v_mul_f32_e32 v146, v146, v6                               // 000000012B3C: 0B240D92
	v_mul_f32_e32 v147, v147, v7                               // 000000012B40: 0B260F93
	v_mul_f32_e32 v144, v144, v216                             // 000000012B44: 0B21B190
	v_mul_f32_e32 v145, v145, v217                             // 000000012B48: 0B23B391
	v_mul_f32_e32 v146, v146, v218                             // 000000012B4C: 0B25B592
	v_mul_f32_e32 v147, v147, v219                             // 000000012B50: 0B27B793
	v_pk_mul_f32 v[4:5], v[148:149], v[148:149]                // 000000012B54: D3B14004 18032994
	v_pk_mul_f32 v[6:7], v[150:151], v[150:151]                // 000000012B5C: D3B14006 18032D96
	v_pk_fma_f32 v[4:5], v[4:5], s[78:79], v[8:9]              // 000000012B64: D3B04004 1C209D04
	v_pk_fma_f32 v[6:7], v[6:7], s[78:79], v[8:9]              // 000000012B6C: D3B04006 1C209D06
	v_pk_mul_f32 v[4:5], v[4:5], v[148:149]                    // 000000012B74: D3B14004 18032904
	v_pk_mul_f32 v[6:7], v[6:7], v[150:151]                    // 000000012B7C: D3B14006 18032D06
	v_pk_mul_f32 v[4:5], v[4:5], s[60:61]                      // 000000012B84: D3B14004 18007904
	v_pk_mul_f32 v[6:7], v[6:7], s[60:61]                      // 000000012B8C: D3B14006 18007906
	v_exp_f32_e32 v4, v4                                       // 000000012B94: 7E084104
	v_exp_f32_e32 v5, v5                                       // 000000012B98: 7E0A4105
	v_exp_f32_e32 v6, v6                                       // 000000012B9C: 7E0C4106
	v_exp_f32_e32 v7, v7                                       // 000000012BA0: 7E0E4107
	v_add_f32_e64 v4, v4, 1.0                                  // 000000012BA4: D1010004 0001E504
	v_add_f32_e64 v5, v5, 1.0                                  // 000000012BAC: D1010005 0001E505
	v_add_f32_e64 v6, v6, 1.0                                  // 000000012BB4: D1010006 0001E506
	v_add_f32_e64 v7, v7, 1.0                                  // 000000012BBC: D1010007 0001E507
	v_rcp_f32_e32 v4, v4                                       // 000000012BC4: 7E084504
	v_rcp_f32_e32 v5, v5                                       // 000000012BC8: 7E0A4505
	v_rcp_f32_e32 v6, v6                                       // 000000012BCC: 7E0C4506
	v_rcp_f32_e32 v7, v7                                       // 000000012BD0: 7E0E4507
	v_mul_f32_e32 v148, v148, v4                               // 000000012BD4: 0B280994
	v_mul_f32_e32 v149, v149, v5                               // 000000012BD8: 0B2A0B95
	v_mul_f32_e32 v150, v150, v6                               // 000000012BDC: 0B2C0D96
	v_mul_f32_e32 v151, v151, v7                               // 000000012BE0: 0B2E0F97
	v_mul_f32_e32 v148, v148, v220                             // 000000012BE4: 0B29B994
	v_mul_f32_e32 v149, v149, v221                             // 000000012BE8: 0B2BBB95
	v_mul_f32_e32 v150, v150, v222                             // 000000012BEC: 0B2DBD96
	v_mul_f32_e32 v151, v151, v223                             // 000000012BF0: 0B2FBF97
	v_pk_mul_f32 v[4:5], v[152:153], v[152:153]                // 000000012BF4: D3B14004 18033198
	v_pk_mul_f32 v[6:7], v[154:155], v[154:155]                // 000000012BFC: D3B14006 1803359A
	v_pk_fma_f32 v[4:5], v[4:5], s[78:79], v[8:9]              // 000000012C04: D3B04004 1C209D04
	v_pk_fma_f32 v[6:7], v[6:7], s[78:79], v[8:9]              // 000000012C0C: D3B04006 1C209D06
	v_pk_mul_f32 v[4:5], v[4:5], v[152:153]                    // 000000012C14: D3B14004 18033104
	v_pk_mul_f32 v[6:7], v[6:7], v[154:155]                    // 000000012C1C: D3B14006 18033506
	v_pk_mul_f32 v[4:5], v[4:5], s[60:61]                      // 000000012C24: D3B14004 18007904
	v_pk_mul_f32 v[6:7], v[6:7], s[60:61]                      // 000000012C2C: D3B14006 18007906
	v_exp_f32_e32 v4, v4                                       // 000000012C34: 7E084104
	v_exp_f32_e32 v5, v5                                       // 000000012C38: 7E0A4105
	v_exp_f32_e32 v6, v6                                       // 000000012C3C: 7E0C4106
	v_exp_f32_e32 v7, v7                                       // 000000012C40: 7E0E4107
	v_add_f32_e64 v4, v4, 1.0                                  // 000000012C44: D1010004 0001E504
	v_add_f32_e64 v5, v5, 1.0                                  // 000000012C4C: D1010005 0001E505
	v_add_f32_e64 v6, v6, 1.0                                  // 000000012C54: D1010006 0001E506
	v_add_f32_e64 v7, v7, 1.0                                  // 000000012C5C: D1010007 0001E507
	v_rcp_f32_e32 v4, v4                                       // 000000012C64: 7E084504
	v_rcp_f32_e32 v5, v5                                       // 000000012C68: 7E0A4505
	v_rcp_f32_e32 v6, v6                                       // 000000012C6C: 7E0C4506
	v_rcp_f32_e32 v7, v7                                       // 000000012C70: 7E0E4507
	v_mul_f32_e32 v152, v152, v4                               // 000000012C74: 0B300998
	v_mul_f32_e32 v153, v153, v5                               // 000000012C78: 0B320B99
	v_mul_f32_e32 v154, v154, v6                               // 000000012C7C: 0B340D9A
	v_mul_f32_e32 v155, v155, v7                               // 000000012C80: 0B360F9B
	v_mul_f32_e32 v152, v152, v224                             // 000000012C84: 0B31C198
	v_mul_f32_e32 v153, v153, v225                             // 000000012C88: 0B33C399
	v_mul_f32_e32 v154, v154, v226                             // 000000012C8C: 0B35C59A
	v_mul_f32_e32 v155, v155, v227                             // 000000012C90: 0B37C79B
	v_pk_mul_f32 v[4:5], v[156:157], v[156:157]                // 000000012C94: D3B14004 1803399C
	v_pk_mul_f32 v[6:7], v[158:159], v[158:159]                // 000000012C9C: D3B14006 18033D9E
	v_pk_fma_f32 v[4:5], v[4:5], s[78:79], v[8:9]              // 000000012CA4: D3B04004 1C209D04
	v_pk_fma_f32 v[6:7], v[6:7], s[78:79], v[8:9]              // 000000012CAC: D3B04006 1C209D06
	v_pk_mul_f32 v[4:5], v[4:5], v[156:157]                    // 000000012CB4: D3B14004 18033904
	v_pk_mul_f32 v[6:7], v[6:7], v[158:159]                    // 000000012CBC: D3B14006 18033D06
	v_pk_mul_f32 v[4:5], v[4:5], s[60:61]                      // 000000012CC4: D3B14004 18007904
	v_pk_mul_f32 v[6:7], v[6:7], s[60:61]                      // 000000012CCC: D3B14006 18007906
	v_exp_f32_e32 v4, v4                                       // 000000012CD4: 7E084104
	v_exp_f32_e32 v5, v5                                       // 000000012CD8: 7E0A4105
	v_exp_f32_e32 v6, v6                                       // 000000012CDC: 7E0C4106
	v_exp_f32_e32 v7, v7                                       // 000000012CE0: 7E0E4107
	v_add_f32_e64 v4, v4, 1.0                                  // 000000012CE4: D1010004 0001E504
	v_add_f32_e64 v5, v5, 1.0                                  // 000000012CEC: D1010005 0001E505
	v_add_f32_e64 v6, v6, 1.0                                  // 000000012CF4: D1010006 0001E506
	v_add_f32_e64 v7, v7, 1.0                                  // 000000012CFC: D1010007 0001E507
	v_rcp_f32_e32 v4, v4                                       // 000000012D04: 7E084504
	v_rcp_f32_e32 v5, v5                                       // 000000012D08: 7E0A4505
	v_rcp_f32_e32 v6, v6                                       // 000000012D0C: 7E0C4506
	v_rcp_f32_e32 v7, v7                                       // 000000012D10: 7E0E4507
	v_mul_f32_e32 v156, v156, v4                               // 000000012D14: 0B38099C
	v_mul_f32_e32 v157, v157, v5                               // 000000012D18: 0B3A0B9D
	v_mul_f32_e32 v158, v158, v6                               // 000000012D1C: 0B3C0D9E
	v_mul_f32_e32 v159, v159, v7                               // 000000012D20: 0B3E0F9F
	v_mul_f32_e32 v156, v156, v228                             // 000000012D24: 0B39C99C
	v_mul_f32_e32 v157, v157, v229                             // 000000012D28: 0B3BCB9D
	v_mul_f32_e32 v158, v158, v230                             // 000000012D2C: 0B3DCD9E
	v_mul_f32_e32 v159, v159, v231                             // 000000012D30: 0B3FCF9F
	s_branch label_4311                                        // 000000012D34: BF820240

0000000000012d38 <label_40D1>:
	v_mul_f32_e64 v4, -v88, s6                                 // 000000012D38: D1050004 20000D58
	v_mul_f32_e64 v5, -v89, s6                                 // 000000012D40: D1050005 20000D59
	v_mul_f32_e64 v6, -v90, s6                                 // 000000012D48: D1050006 20000D5A
	v_mul_f32_e64 v7, -v91, s6                                 // 000000012D50: D1050007 20000D5B
	v_exp_f32_e32 v4, v4                                       // 000000012D58: 7E084104
	v_exp_f32_e32 v5, v5                                       // 000000012D5C: 7E0A4105
	v_exp_f32_e32 v6, v6                                       // 000000012D60: 7E0C4106
	v_exp_f32_e32 v7, v7                                       // 000000012D64: 7E0E4107
	v_add_f32_e64 v4, v4, 1.0                                  // 000000012D68: D1010004 0001E504
	v_add_f32_e64 v5, v5, 1.0                                  // 000000012D70: D1010005 0001E505
	v_add_f32_e64 v6, v6, 1.0                                  // 000000012D78: D1010006 0001E506
	v_add_f32_e64 v7, v7, 1.0                                  // 000000012D80: D1010007 0001E507
	v_rcp_f32_e32 v4, v4                                       // 000000012D88: 7E084504
	v_rcp_f32_e32 v5, v5                                       // 000000012D8C: 7E0A4505
	v_rcp_f32_e32 v6, v6                                       // 000000012D90: 7E0C4506
	v_rcp_f32_e32 v7, v7                                       // 000000012D94: 7E0E4507
	v_mul_f32_e32 v88, v88, v4                                 // 000000012D98: 0AB00958
	v_mul_f32_e32 v89, v89, v5                                 // 000000012D9C: 0AB20B59
	v_mul_f32_e32 v90, v90, v6                                 // 000000012DA0: 0AB40D5A
	v_mul_f32_e32 v91, v91, v7                                 // 000000012DA4: 0AB60F5B
	v_mul_f32_e32 v88, v88, v160                               // 000000012DA8: 0AB14158
	v_mul_f32_e32 v89, v89, v161                               // 000000012DAC: 0AB34359
	v_mul_f32_e32 v90, v90, v162                               // 000000012DB0: 0AB5455A
	v_mul_f32_e32 v91, v91, v163                               // 000000012DB4: 0AB7475B
	v_mul_f32_e64 v4, -v92, s6                                 // 000000012DB8: D1050004 20000D5C
	v_mul_f32_e64 v5, -v93, s6                                 // 000000012DC0: D1050005 20000D5D
	v_mul_f32_e64 v6, -v94, s6                                 // 000000012DC8: D1050006 20000D5E
	v_mul_f32_e64 v7, -v95, s6                                 // 000000012DD0: D1050007 20000D5F
	v_exp_f32_e32 v4, v4                                       // 000000012DD8: 7E084104
	v_exp_f32_e32 v5, v5                                       // 000000012DDC: 7E0A4105
	v_exp_f32_e32 v6, v6                                       // 000000012DE0: 7E0C4106
	v_exp_f32_e32 v7, v7                                       // 000000012DE4: 7E0E4107
	v_add_f32_e64 v4, v4, 1.0                                  // 000000012DE8: D1010004 0001E504
	v_add_f32_e64 v5, v5, 1.0                                  // 000000012DF0: D1010005 0001E505
	v_add_f32_e64 v6, v6, 1.0                                  // 000000012DF8: D1010006 0001E506
	v_add_f32_e64 v7, v7, 1.0                                  // 000000012E00: D1010007 0001E507
	v_rcp_f32_e32 v4, v4                                       // 000000012E08: 7E084504
	v_rcp_f32_e32 v5, v5                                       // 000000012E0C: 7E0A4505
	v_rcp_f32_e32 v6, v6                                       // 000000012E10: 7E0C4506
	v_rcp_f32_e32 v7, v7                                       // 000000012E14: 7E0E4507
	v_mul_f32_e32 v92, v92, v4                                 // 000000012E18: 0AB8095C
	v_mul_f32_e32 v93, v93, v5                                 // 000000012E1C: 0ABA0B5D
	v_mul_f32_e32 v94, v94, v6                                 // 000000012E20: 0ABC0D5E
	v_mul_f32_e32 v95, v95, v7                                 // 000000012E24: 0ABE0F5F
	v_mul_f32_e32 v92, v92, v164                               // 000000012E28: 0AB9495C
	v_mul_f32_e32 v93, v93, v165                               // 000000012E2C: 0ABB4B5D
	v_mul_f32_e32 v94, v94, v166                               // 000000012E30: 0ABD4D5E
	v_mul_f32_e32 v95, v95, v167                               // 000000012E34: 0ABF4F5F
	v_mul_f32_e64 v4, -v96, s6                                 // 000000012E38: D1050004 20000D60
	v_mul_f32_e64 v5, -v97, s6                                 // 000000012E40: D1050005 20000D61
	v_mul_f32_e64 v6, -v98, s6                                 // 000000012E48: D1050006 20000D62
	v_mul_f32_e64 v7, -v99, s6                                 // 000000012E50: D1050007 20000D63
	v_exp_f32_e32 v4, v4                                       // 000000012E58: 7E084104
	v_exp_f32_e32 v5, v5                                       // 000000012E5C: 7E0A4105
	v_exp_f32_e32 v6, v6                                       // 000000012E60: 7E0C4106
	v_exp_f32_e32 v7, v7                                       // 000000012E64: 7E0E4107
	v_add_f32_e64 v4, v4, 1.0                                  // 000000012E68: D1010004 0001E504
	v_add_f32_e64 v5, v5, 1.0                                  // 000000012E70: D1010005 0001E505
	v_add_f32_e64 v6, v6, 1.0                                  // 000000012E78: D1010006 0001E506
	v_add_f32_e64 v7, v7, 1.0                                  // 000000012E80: D1010007 0001E507
	v_rcp_f32_e32 v4, v4                                       // 000000012E88: 7E084504
	v_rcp_f32_e32 v5, v5                                       // 000000012E8C: 7E0A4505
	v_rcp_f32_e32 v6, v6                                       // 000000012E90: 7E0C4506
	v_rcp_f32_e32 v7, v7                                       // 000000012E94: 7E0E4507
	v_mul_f32_e32 v96, v96, v4                                 // 000000012E98: 0AC00960
	v_mul_f32_e32 v97, v97, v5                                 // 000000012E9C: 0AC20B61
	v_mul_f32_e32 v98, v98, v6                                 // 000000012EA0: 0AC40D62
	v_mul_f32_e32 v99, v99, v7                                 // 000000012EA4: 0AC60F63
	v_mul_f32_e32 v96, v96, v168                               // 000000012EA8: 0AC15160
	v_mul_f32_e32 v97, v97, v169                               // 000000012EAC: 0AC35361
	v_mul_f32_e32 v98, v98, v170                               // 000000012EB0: 0AC55562
	v_mul_f32_e32 v99, v99, v171                               // 000000012EB4: 0AC75763
	v_mul_f32_e64 v4, -v100, s6                                // 000000012EB8: D1050004 20000D64
	v_mul_f32_e64 v5, -v101, s6                                // 000000012EC0: D1050005 20000D65
	v_mul_f32_e64 v6, -v102, s6                                // 000000012EC8: D1050006 20000D66
	v_mul_f32_e64 v7, -v103, s6                                // 000000012ED0: D1050007 20000D67
	v_exp_f32_e32 v4, v4                                       // 000000012ED8: 7E084104
	v_exp_f32_e32 v5, v5                                       // 000000012EDC: 7E0A4105
	v_exp_f32_e32 v6, v6                                       // 000000012EE0: 7E0C4106
	v_exp_f32_e32 v7, v7                                       // 000000012EE4: 7E0E4107
	v_add_f32_e64 v4, v4, 1.0                                  // 000000012EE8: D1010004 0001E504
	v_add_f32_e64 v5, v5, 1.0                                  // 000000012EF0: D1010005 0001E505
	v_add_f32_e64 v6, v6, 1.0                                  // 000000012EF8: D1010006 0001E506
	v_add_f32_e64 v7, v7, 1.0                                  // 000000012F00: D1010007 0001E507
	v_rcp_f32_e32 v4, v4                                       // 000000012F08: 7E084504
	v_rcp_f32_e32 v5, v5                                       // 000000012F0C: 7E0A4505
	v_rcp_f32_e32 v6, v6                                       // 000000012F10: 7E0C4506
	v_rcp_f32_e32 v7, v7                                       // 000000012F14: 7E0E4507
	v_mul_f32_e32 v100, v100, v4                               // 000000012F18: 0AC80964
	v_mul_f32_e32 v101, v101, v5                               // 000000012F1C: 0ACA0B65
	v_mul_f32_e32 v102, v102, v6                               // 000000012F20: 0ACC0D66
	v_mul_f32_e32 v103, v103, v7                               // 000000012F24: 0ACE0F67
	v_mul_f32_e32 v100, v100, v172                             // 000000012F28: 0AC95964
	v_mul_f32_e32 v101, v101, v173                             // 000000012F2C: 0ACB5B65
	v_mul_f32_e32 v102, v102, v174                             // 000000012F30: 0ACD5D66
	v_mul_f32_e32 v103, v103, v175                             // 000000012F34: 0ACF5F67
	v_mul_f32_e64 v4, -v104, s6                                // 000000012F38: D1050004 20000D68
	v_mul_f32_e64 v5, -v105, s6                                // 000000012F40: D1050005 20000D69
	v_mul_f32_e64 v6, -v106, s6                                // 000000012F48: D1050006 20000D6A
	v_mul_f32_e64 v7, -v107, s6                                // 000000012F50: D1050007 20000D6B
	v_exp_f32_e32 v4, v4                                       // 000000012F58: 7E084104
	v_exp_f32_e32 v5, v5                                       // 000000012F5C: 7E0A4105
	v_exp_f32_e32 v6, v6                                       // 000000012F60: 7E0C4106
	v_exp_f32_e32 v7, v7                                       // 000000012F64: 7E0E4107
	v_add_f32_e64 v4, v4, 1.0                                  // 000000012F68: D1010004 0001E504
	v_add_f32_e64 v5, v5, 1.0                                  // 000000012F70: D1010005 0001E505
	v_add_f32_e64 v6, v6, 1.0                                  // 000000012F78: D1010006 0001E506
	v_add_f32_e64 v7, v7, 1.0                                  // 000000012F80: D1010007 0001E507
	v_rcp_f32_e32 v4, v4                                       // 000000012F88: 7E084504
	v_rcp_f32_e32 v5, v5                                       // 000000012F8C: 7E0A4505
	v_rcp_f32_e32 v6, v6                                       // 000000012F90: 7E0C4506
	v_rcp_f32_e32 v7, v7                                       // 000000012F94: 7E0E4507
	v_mul_f32_e32 v104, v104, v4                               // 000000012F98: 0AD00968
	v_mul_f32_e32 v105, v105, v5                               // 000000012F9C: 0AD20B69
	v_mul_f32_e32 v106, v106, v6                               // 000000012FA0: 0AD40D6A
	v_mul_f32_e32 v107, v107, v7                               // 000000012FA4: 0AD60F6B
	v_mul_f32_e32 v104, v104, v176                             // 000000012FA8: 0AD16168
	v_mul_f32_e32 v105, v105, v177                             // 000000012FAC: 0AD36369
	v_mul_f32_e32 v106, v106, v178                             // 000000012FB0: 0AD5656A
	v_mul_f32_e32 v107, v107, v179                             // 000000012FB4: 0AD7676B
	v_mul_f32_e64 v4, -v108, s6                                // 000000012FB8: D1050004 20000D6C
	v_mul_f32_e64 v5, -v109, s6                                // 000000012FC0: D1050005 20000D6D
	v_mul_f32_e64 v6, -v110, s6                                // 000000012FC8: D1050006 20000D6E
	v_mul_f32_e64 v7, -v111, s6                                // 000000012FD0: D1050007 20000D6F
	v_exp_f32_e32 v4, v4                                       // 000000012FD8: 7E084104
	v_exp_f32_e32 v5, v5                                       // 000000012FDC: 7E0A4105
	v_exp_f32_e32 v6, v6                                       // 000000012FE0: 7E0C4106
	v_exp_f32_e32 v7, v7                                       // 000000012FE4: 7E0E4107
	v_add_f32_e64 v4, v4, 1.0                                  // 000000012FE8: D1010004 0001E504
	v_add_f32_e64 v5, v5, 1.0                                  // 000000012FF0: D1010005 0001E505
	v_add_f32_e64 v6, v6, 1.0                                  // 000000012FF8: D1010006 0001E506
	v_add_f32_e64 v7, v7, 1.0                                  // 000000013000: D1010007 0001E507
	v_rcp_f32_e32 v4, v4                                       // 000000013008: 7E084504
	v_rcp_f32_e32 v5, v5                                       // 00000001300C: 7E0A4505
	v_rcp_f32_e32 v6, v6                                       // 000000013010: 7E0C4506
	v_rcp_f32_e32 v7, v7                                       // 000000013014: 7E0E4507
	v_mul_f32_e32 v108, v108, v4                               // 000000013018: 0AD8096C
	v_mul_f32_e32 v109, v109, v5                               // 00000001301C: 0ADA0B6D
	v_mul_f32_e32 v110, v110, v6                               // 000000013020: 0ADC0D6E
	v_mul_f32_e32 v111, v111, v7                               // 000000013024: 0ADE0F6F
	v_mul_f32_e32 v108, v108, v180                             // 000000013028: 0AD9696C
	v_mul_f32_e32 v109, v109, v181                             // 00000001302C: 0ADB6B6D
	v_mul_f32_e32 v110, v110, v182                             // 000000013030: 0ADD6D6E
	v_mul_f32_e32 v111, v111, v183                             // 000000013034: 0ADF6F6F
	v_mul_f32_e64 v4, -v112, s6                                // 000000013038: D1050004 20000D70
	v_mul_f32_e64 v5, -v113, s6                                // 000000013040: D1050005 20000D71
	v_mul_f32_e64 v6, -v114, s6                                // 000000013048: D1050006 20000D72
	v_mul_f32_e64 v7, -v115, s6                                // 000000013050: D1050007 20000D73
	v_exp_f32_e32 v4, v4                                       // 000000013058: 7E084104
	v_exp_f32_e32 v5, v5                                       // 00000001305C: 7E0A4105
	v_exp_f32_e32 v6, v6                                       // 000000013060: 7E0C4106
	v_exp_f32_e32 v7, v7                                       // 000000013064: 7E0E4107
	v_add_f32_e64 v4, v4, 1.0                                  // 000000013068: D1010004 0001E504
	v_add_f32_e64 v5, v5, 1.0                                  // 000000013070: D1010005 0001E505
	v_add_f32_e64 v6, v6, 1.0                                  // 000000013078: D1010006 0001E506
	v_add_f32_e64 v7, v7, 1.0                                  // 000000013080: D1010007 0001E507
	v_rcp_f32_e32 v4, v4                                       // 000000013088: 7E084504
	v_rcp_f32_e32 v5, v5                                       // 00000001308C: 7E0A4505
	v_rcp_f32_e32 v6, v6                                       // 000000013090: 7E0C4506
	v_rcp_f32_e32 v7, v7                                       // 000000013094: 7E0E4507
	v_mul_f32_e32 v112, v112, v4                               // 000000013098: 0AE00970
	v_mul_f32_e32 v113, v113, v5                               // 00000001309C: 0AE20B71
	v_mul_f32_e32 v114, v114, v6                               // 0000000130A0: 0AE40D72
	v_mul_f32_e32 v115, v115, v7                               // 0000000130A4: 0AE60F73
	v_mul_f32_e32 v112, v112, v184                             // 0000000130A8: 0AE17170
	v_mul_f32_e32 v113, v113, v185                             // 0000000130AC: 0AE37371
	v_mul_f32_e32 v114, v114, v186                             // 0000000130B0: 0AE57572
	v_mul_f32_e32 v115, v115, v187                             // 0000000130B4: 0AE77773
	v_mul_f32_e64 v4, -v116, s6                                // 0000000130B8: D1050004 20000D74
	v_mul_f32_e64 v5, -v117, s6                                // 0000000130C0: D1050005 20000D75
	v_mul_f32_e64 v6, -v118, s6                                // 0000000130C8: D1050006 20000D76
	v_mul_f32_e64 v7, -v119, s6                                // 0000000130D0: D1050007 20000D77
	v_exp_f32_e32 v4, v4                                       // 0000000130D8: 7E084104
	v_exp_f32_e32 v5, v5                                       // 0000000130DC: 7E0A4105
	v_exp_f32_e32 v6, v6                                       // 0000000130E0: 7E0C4106
	v_exp_f32_e32 v7, v7                                       // 0000000130E4: 7E0E4107
	v_add_f32_e64 v4, v4, 1.0                                  // 0000000130E8: D1010004 0001E504
	v_add_f32_e64 v5, v5, 1.0                                  // 0000000130F0: D1010005 0001E505
	v_add_f32_e64 v6, v6, 1.0                                  // 0000000130F8: D1010006 0001E506
	v_add_f32_e64 v7, v7, 1.0                                  // 000000013100: D1010007 0001E507
	v_rcp_f32_e32 v4, v4                                       // 000000013108: 7E084504
	v_rcp_f32_e32 v5, v5                                       // 00000001310C: 7E0A4505
	v_rcp_f32_e32 v6, v6                                       // 000000013110: 7E0C4506
	v_rcp_f32_e32 v7, v7                                       // 000000013114: 7E0E4507
	v_mul_f32_e32 v116, v116, v4                               // 000000013118: 0AE80974
	v_mul_f32_e32 v117, v117, v5                               // 00000001311C: 0AEA0B75
	v_mul_f32_e32 v118, v118, v6                               // 000000013120: 0AEC0D76
	v_mul_f32_e32 v119, v119, v7                               // 000000013124: 0AEE0F77
	v_mul_f32_e32 v116, v116, v188                             // 000000013128: 0AE97974
	v_mul_f32_e32 v117, v117, v189                             // 00000001312C: 0AEB7B75
	v_mul_f32_e32 v118, v118, v190                             // 000000013130: 0AED7D76
	v_mul_f32_e32 v119, v119, v191                             // 000000013134: 0AEF7F77
	v_mul_f32_e64 v4, -v120, s6                                // 000000013138: D1050004 20000D78
	v_mul_f32_e64 v5, -v121, s6                                // 000000013140: D1050005 20000D79
	v_mul_f32_e64 v6, -v122, s6                                // 000000013148: D1050006 20000D7A
	v_mul_f32_e64 v7, -v123, s6                                // 000000013150: D1050007 20000D7B
	v_exp_f32_e32 v4, v4                                       // 000000013158: 7E084104
	v_exp_f32_e32 v5, v5                                       // 00000001315C: 7E0A4105
	v_exp_f32_e32 v6, v6                                       // 000000013160: 7E0C4106
	v_exp_f32_e32 v7, v7                                       // 000000013164: 7E0E4107
	v_add_f32_e64 v4, v4, 1.0                                  // 000000013168: D1010004 0001E504
	v_add_f32_e64 v5, v5, 1.0                                  // 000000013170: D1010005 0001E505
	v_add_f32_e64 v6, v6, 1.0                                  // 000000013178: D1010006 0001E506
	v_add_f32_e64 v7, v7, 1.0                                  // 000000013180: D1010007 0001E507
	v_rcp_f32_e32 v4, v4                                       // 000000013188: 7E084504
	v_rcp_f32_e32 v5, v5                                       // 00000001318C: 7E0A4505
	v_rcp_f32_e32 v6, v6                                       // 000000013190: 7E0C4506
	v_rcp_f32_e32 v7, v7                                       // 000000013194: 7E0E4507
	v_mul_f32_e32 v120, v120, v4                               // 000000013198: 0AF00978
	v_mul_f32_e32 v121, v121, v5                               // 00000001319C: 0AF20B79
	v_mul_f32_e32 v122, v122, v6                               // 0000000131A0: 0AF40D7A
	v_mul_f32_e32 v123, v123, v7                               // 0000000131A4: 0AF60F7B
	v_mul_f32_e32 v120, v120, v192                             // 0000000131A8: 0AF18178
	v_mul_f32_e32 v121, v121, v193                             // 0000000131AC: 0AF38379
	v_mul_f32_e32 v122, v122, v194                             // 0000000131B0: 0AF5857A
	v_mul_f32_e32 v123, v123, v195                             // 0000000131B4: 0AF7877B
	v_mul_f32_e64 v4, -v124, s6                                // 0000000131B8: D1050004 20000D7C
	v_mul_f32_e64 v5, -v125, s6                                // 0000000131C0: D1050005 20000D7D
	v_mul_f32_e64 v6, -v126, s6                                // 0000000131C8: D1050006 20000D7E
	v_mul_f32_e64 v7, -v127, s6                                // 0000000131D0: D1050007 20000D7F
	v_exp_f32_e32 v4, v4                                       // 0000000131D8: 7E084104
	v_exp_f32_e32 v5, v5                                       // 0000000131DC: 7E0A4105
	v_exp_f32_e32 v6, v6                                       // 0000000131E0: 7E0C4106
	v_exp_f32_e32 v7, v7                                       // 0000000131E4: 7E0E4107
	v_add_f32_e64 v4, v4, 1.0                                  // 0000000131E8: D1010004 0001E504
	v_add_f32_e64 v5, v5, 1.0                                  // 0000000131F0: D1010005 0001E505
	v_add_f32_e64 v6, v6, 1.0                                  // 0000000131F8: D1010006 0001E506
	v_add_f32_e64 v7, v7, 1.0                                  // 000000013200: D1010007 0001E507
	v_rcp_f32_e32 v4, v4                                       // 000000013208: 7E084504
	v_rcp_f32_e32 v5, v5                                       // 00000001320C: 7E0A4505
	v_rcp_f32_e32 v6, v6                                       // 000000013210: 7E0C4506
	v_rcp_f32_e32 v7, v7                                       // 000000013214: 7E0E4507
	v_mul_f32_e32 v124, v124, v4                               // 000000013218: 0AF8097C
	v_mul_f32_e32 v125, v125, v5                               // 00000001321C: 0AFA0B7D
	v_mul_f32_e32 v126, v126, v6                               // 000000013220: 0AFC0D7E
	v_mul_f32_e32 v127, v127, v7                               // 000000013224: 0AFE0F7F
	v_mul_f32_e32 v124, v124, v196                             // 000000013228: 0AF9897C
	v_mul_f32_e32 v125, v125, v197                             // 00000001322C: 0AFB8B7D
	v_mul_f32_e32 v126, v126, v198                             // 000000013230: 0AFD8D7E
	v_mul_f32_e32 v127, v127, v199                             // 000000013234: 0AFF8F7F
	v_mul_f32_e64 v4, -v128, s6                                // 000000013238: D1050004 20000D80
	v_mul_f32_e64 v5, -v129, s6                                // 000000013240: D1050005 20000D81
	v_mul_f32_e64 v6, -v130, s6                                // 000000013248: D1050006 20000D82
	v_mul_f32_e64 v7, -v131, s6                                // 000000013250: D1050007 20000D83
	v_exp_f32_e32 v4, v4                                       // 000000013258: 7E084104
	v_exp_f32_e32 v5, v5                                       // 00000001325C: 7E0A4105
	v_exp_f32_e32 v6, v6                                       // 000000013260: 7E0C4106
	v_exp_f32_e32 v7, v7                                       // 000000013264: 7E0E4107
	v_add_f32_e64 v4, v4, 1.0                                  // 000000013268: D1010004 0001E504
	v_add_f32_e64 v5, v5, 1.0                                  // 000000013270: D1010005 0001E505
	v_add_f32_e64 v6, v6, 1.0                                  // 000000013278: D1010006 0001E506
	v_add_f32_e64 v7, v7, 1.0                                  // 000000013280: D1010007 0001E507
	v_rcp_f32_e32 v4, v4                                       // 000000013288: 7E084504
	v_rcp_f32_e32 v5, v5                                       // 00000001328C: 7E0A4505
	v_rcp_f32_e32 v6, v6                                       // 000000013290: 7E0C4506
	v_rcp_f32_e32 v7, v7                                       // 000000013294: 7E0E4507
	v_mul_f32_e32 v128, v128, v4                               // 000000013298: 0B000980
	v_mul_f32_e32 v129, v129, v5                               // 00000001329C: 0B020B81
	v_mul_f32_e32 v130, v130, v6                               // 0000000132A0: 0B040D82
	v_mul_f32_e32 v131, v131, v7                               // 0000000132A4: 0B060F83
	v_mul_f32_e32 v128, v128, v200                             // 0000000132A8: 0B019180
	v_mul_f32_e32 v129, v129, v201                             // 0000000132AC: 0B039381
	v_mul_f32_e32 v130, v130, v202                             // 0000000132B0: 0B059582
	v_mul_f32_e32 v131, v131, v203                             // 0000000132B4: 0B079783
	v_mul_f32_e64 v4, -v132, s6                                // 0000000132B8: D1050004 20000D84
	v_mul_f32_e64 v5, -v133, s6                                // 0000000132C0: D1050005 20000D85
	v_mul_f32_e64 v6, -v134, s6                                // 0000000132C8: D1050006 20000D86
	v_mul_f32_e64 v7, -v135, s6                                // 0000000132D0: D1050007 20000D87
	v_exp_f32_e32 v4, v4                                       // 0000000132D8: 7E084104
	v_exp_f32_e32 v5, v5                                       // 0000000132DC: 7E0A4105
	v_exp_f32_e32 v6, v6                                       // 0000000132E0: 7E0C4106
	v_exp_f32_e32 v7, v7                                       // 0000000132E4: 7E0E4107
	v_add_f32_e64 v4, v4, 1.0                                  // 0000000132E8: D1010004 0001E504
	v_add_f32_e64 v5, v5, 1.0                                  // 0000000132F0: D1010005 0001E505
	v_add_f32_e64 v6, v6, 1.0                                  // 0000000132F8: D1010006 0001E506
	v_add_f32_e64 v7, v7, 1.0                                  // 000000013300: D1010007 0001E507
	v_rcp_f32_e32 v4, v4                                       // 000000013308: 7E084504
	v_rcp_f32_e32 v5, v5                                       // 00000001330C: 7E0A4505
	v_rcp_f32_e32 v6, v6                                       // 000000013310: 7E0C4506
	v_rcp_f32_e32 v7, v7                                       // 000000013314: 7E0E4507
	v_mul_f32_e32 v132, v132, v4                               // 000000013318: 0B080984
	v_mul_f32_e32 v133, v133, v5                               // 00000001331C: 0B0A0B85
	v_mul_f32_e32 v134, v134, v6                               // 000000013320: 0B0C0D86
	v_mul_f32_e32 v135, v135, v7                               // 000000013324: 0B0E0F87
	v_mul_f32_e32 v132, v132, v204                             // 000000013328: 0B099984
	v_mul_f32_e32 v133, v133, v205                             // 00000001332C: 0B0B9B85
	v_mul_f32_e32 v134, v134, v206                             // 000000013330: 0B0D9D86
	v_mul_f32_e32 v135, v135, v207                             // 000000013334: 0B0F9F87
	v_mul_f32_e64 v4, -v136, s6                                // 000000013338: D1050004 20000D88
	v_mul_f32_e64 v5, -v137, s6                                // 000000013340: D1050005 20000D89
	v_mul_f32_e64 v6, -v138, s6                                // 000000013348: D1050006 20000D8A
	v_mul_f32_e64 v7, -v139, s6                                // 000000013350: D1050007 20000D8B
	v_exp_f32_e32 v4, v4                                       // 000000013358: 7E084104
	v_exp_f32_e32 v5, v5                                       // 00000001335C: 7E0A4105
	v_exp_f32_e32 v6, v6                                       // 000000013360: 7E0C4106
	v_exp_f32_e32 v7, v7                                       // 000000013364: 7E0E4107
	v_add_f32_e64 v4, v4, 1.0                                  // 000000013368: D1010004 0001E504
	v_add_f32_e64 v5, v5, 1.0                                  // 000000013370: D1010005 0001E505
	v_add_f32_e64 v6, v6, 1.0                                  // 000000013378: D1010006 0001E506
	v_add_f32_e64 v7, v7, 1.0                                  // 000000013380: D1010007 0001E507
	v_rcp_f32_e32 v4, v4                                       // 000000013388: 7E084504
	v_rcp_f32_e32 v5, v5                                       // 00000001338C: 7E0A4505
	v_rcp_f32_e32 v6, v6                                       // 000000013390: 7E0C4506
	v_rcp_f32_e32 v7, v7                                       // 000000013394: 7E0E4507
	v_mul_f32_e32 v136, v136, v4                               // 000000013398: 0B100988
	v_mul_f32_e32 v137, v137, v5                               // 00000001339C: 0B120B89
	v_mul_f32_e32 v138, v138, v6                               // 0000000133A0: 0B140D8A
	v_mul_f32_e32 v139, v139, v7                               // 0000000133A4: 0B160F8B
	v_mul_f32_e32 v136, v136, v208                             // 0000000133A8: 0B11A188
	v_mul_f32_e32 v137, v137, v209                             // 0000000133AC: 0B13A389
	v_mul_f32_e32 v138, v138, v210                             // 0000000133B0: 0B15A58A
	v_mul_f32_e32 v139, v139, v211                             // 0000000133B4: 0B17A78B
	v_mul_f32_e64 v4, -v140, s6                                // 0000000133B8: D1050004 20000D8C
	v_mul_f32_e64 v5, -v141, s6                                // 0000000133C0: D1050005 20000D8D
	v_mul_f32_e64 v6, -v142, s6                                // 0000000133C8: D1050006 20000D8E
	v_mul_f32_e64 v7, -v143, s6                                // 0000000133D0: D1050007 20000D8F
	v_exp_f32_e32 v4, v4                                       // 0000000133D8: 7E084104
	v_exp_f32_e32 v5, v5                                       // 0000000133DC: 7E0A4105
	v_exp_f32_e32 v6, v6                                       // 0000000133E0: 7E0C4106
	v_exp_f32_e32 v7, v7                                       // 0000000133E4: 7E0E4107
	v_add_f32_e64 v4, v4, 1.0                                  // 0000000133E8: D1010004 0001E504
	v_add_f32_e64 v5, v5, 1.0                                  // 0000000133F0: D1010005 0001E505
	v_add_f32_e64 v6, v6, 1.0                                  // 0000000133F8: D1010006 0001E506
	v_add_f32_e64 v7, v7, 1.0                                  // 000000013400: D1010007 0001E507
	v_rcp_f32_e32 v4, v4                                       // 000000013408: 7E084504
	v_rcp_f32_e32 v5, v5                                       // 00000001340C: 7E0A4505
	v_rcp_f32_e32 v6, v6                                       // 000000013410: 7E0C4506
	v_rcp_f32_e32 v7, v7                                       // 000000013414: 7E0E4507
	v_mul_f32_e32 v140, v140, v4                               // 000000013418: 0B18098C
	v_mul_f32_e32 v141, v141, v5                               // 00000001341C: 0B1A0B8D
	v_mul_f32_e32 v142, v142, v6                               // 000000013420: 0B1C0D8E
	v_mul_f32_e32 v143, v143, v7                               // 000000013424: 0B1E0F8F
	v_mul_f32_e32 v140, v140, v212                             // 000000013428: 0B19A98C
	v_mul_f32_e32 v141, v141, v213                             // 00000001342C: 0B1BAB8D
	v_mul_f32_e32 v142, v142, v214                             // 000000013430: 0B1DAD8E
	v_mul_f32_e32 v143, v143, v215                             // 000000013434: 0B1FAF8F
	v_mul_f32_e64 v4, -v144, s6                                // 000000013438: D1050004 20000D90
	v_mul_f32_e64 v5, -v145, s6                                // 000000013440: D1050005 20000D91
	v_mul_f32_e64 v6, -v146, s6                                // 000000013448: D1050006 20000D92
	v_mul_f32_e64 v7, -v147, s6                                // 000000013450: D1050007 20000D93
	v_exp_f32_e32 v4, v4                                       // 000000013458: 7E084104
	v_exp_f32_e32 v5, v5                                       // 00000001345C: 7E0A4105
	v_exp_f32_e32 v6, v6                                       // 000000013460: 7E0C4106
	v_exp_f32_e32 v7, v7                                       // 000000013464: 7E0E4107
	v_add_f32_e64 v4, v4, 1.0                                  // 000000013468: D1010004 0001E504
	v_add_f32_e64 v5, v5, 1.0                                  // 000000013470: D1010005 0001E505
	v_add_f32_e64 v6, v6, 1.0                                  // 000000013478: D1010006 0001E506
	v_add_f32_e64 v7, v7, 1.0                                  // 000000013480: D1010007 0001E507
	v_rcp_f32_e32 v4, v4                                       // 000000013488: 7E084504
	v_rcp_f32_e32 v5, v5                                       // 00000001348C: 7E0A4505
	v_rcp_f32_e32 v6, v6                                       // 000000013490: 7E0C4506
	v_rcp_f32_e32 v7, v7                                       // 000000013494: 7E0E4507
	v_mul_f32_e32 v144, v144, v4                               // 000000013498: 0B200990
	v_mul_f32_e32 v145, v145, v5                               // 00000001349C: 0B220B91
	v_mul_f32_e32 v146, v146, v6                               // 0000000134A0: 0B240D92
	v_mul_f32_e32 v147, v147, v7                               // 0000000134A4: 0B260F93
	v_mul_f32_e32 v144, v144, v216                             // 0000000134A8: 0B21B190
	v_mul_f32_e32 v145, v145, v217                             // 0000000134AC: 0B23B391
	v_mul_f32_e32 v146, v146, v218                             // 0000000134B0: 0B25B592
	v_mul_f32_e32 v147, v147, v219                             // 0000000134B4: 0B27B793
	v_mul_f32_e64 v4, -v148, s6                                // 0000000134B8: D1050004 20000D94
	v_mul_f32_e64 v5, -v149, s6                                // 0000000134C0: D1050005 20000D95
	v_mul_f32_e64 v6, -v150, s6                                // 0000000134C8: D1050006 20000D96
	v_mul_f32_e64 v7, -v151, s6                                // 0000000134D0: D1050007 20000D97
	v_exp_f32_e32 v4, v4                                       // 0000000134D8: 7E084104
	v_exp_f32_e32 v5, v5                                       // 0000000134DC: 7E0A4105
	v_exp_f32_e32 v6, v6                                       // 0000000134E0: 7E0C4106
	v_exp_f32_e32 v7, v7                                       // 0000000134E4: 7E0E4107
	v_add_f32_e64 v4, v4, 1.0                                  // 0000000134E8: D1010004 0001E504
	v_add_f32_e64 v5, v5, 1.0                                  // 0000000134F0: D1010005 0001E505
	v_add_f32_e64 v6, v6, 1.0                                  // 0000000134F8: D1010006 0001E506
	v_add_f32_e64 v7, v7, 1.0                                  // 000000013500: D1010007 0001E507
	v_rcp_f32_e32 v4, v4                                       // 000000013508: 7E084504
	v_rcp_f32_e32 v5, v5                                       // 00000001350C: 7E0A4505
	v_rcp_f32_e32 v6, v6                                       // 000000013510: 7E0C4506
	v_rcp_f32_e32 v7, v7                                       // 000000013514: 7E0E4507
	v_mul_f32_e32 v148, v148, v4                               // 000000013518: 0B280994
	v_mul_f32_e32 v149, v149, v5                               // 00000001351C: 0B2A0B95
	v_mul_f32_e32 v150, v150, v6                               // 000000013520: 0B2C0D96
	v_mul_f32_e32 v151, v151, v7                               // 000000013524: 0B2E0F97
	v_mul_f32_e32 v148, v148, v220                             // 000000013528: 0B29B994
	v_mul_f32_e32 v149, v149, v221                             // 00000001352C: 0B2BBB95
	v_mul_f32_e32 v150, v150, v222                             // 000000013530: 0B2DBD96
	v_mul_f32_e32 v151, v151, v223                             // 000000013534: 0B2FBF97
	v_mul_f32_e64 v4, -v152, s6                                // 000000013538: D1050004 20000D98
	v_mul_f32_e64 v5, -v153, s6                                // 000000013540: D1050005 20000D99
	v_mul_f32_e64 v6, -v154, s6                                // 000000013548: D1050006 20000D9A
	v_mul_f32_e64 v7, -v155, s6                                // 000000013550: D1050007 20000D9B
	v_exp_f32_e32 v4, v4                                       // 000000013558: 7E084104
	v_exp_f32_e32 v5, v5                                       // 00000001355C: 7E0A4105
	v_exp_f32_e32 v6, v6                                       // 000000013560: 7E0C4106
	v_exp_f32_e32 v7, v7                                       // 000000013564: 7E0E4107
	v_add_f32_e64 v4, v4, 1.0                                  // 000000013568: D1010004 0001E504
	v_add_f32_e64 v5, v5, 1.0                                  // 000000013570: D1010005 0001E505
	v_add_f32_e64 v6, v6, 1.0                                  // 000000013578: D1010006 0001E506
	v_add_f32_e64 v7, v7, 1.0                                  // 000000013580: D1010007 0001E507
	v_rcp_f32_e32 v4, v4                                       // 000000013588: 7E084504
	v_rcp_f32_e32 v5, v5                                       // 00000001358C: 7E0A4505
	v_rcp_f32_e32 v6, v6                                       // 000000013590: 7E0C4506
	v_rcp_f32_e32 v7, v7                                       // 000000013594: 7E0E4507
	v_mul_f32_e32 v152, v152, v4                               // 000000013598: 0B300998
	v_mul_f32_e32 v153, v153, v5                               // 00000001359C: 0B320B99
	v_mul_f32_e32 v154, v154, v6                               // 0000000135A0: 0B340D9A
	v_mul_f32_e32 v155, v155, v7                               // 0000000135A4: 0B360F9B
	v_mul_f32_e32 v152, v152, v224                             // 0000000135A8: 0B31C198
	v_mul_f32_e32 v153, v153, v225                             // 0000000135AC: 0B33C399
	v_mul_f32_e32 v154, v154, v226                             // 0000000135B0: 0B35C59A
	v_mul_f32_e32 v155, v155, v227                             // 0000000135B4: 0B37C79B
	v_mul_f32_e64 v4, -v156, s6                                // 0000000135B8: D1050004 20000D9C
	v_mul_f32_e64 v5, -v157, s6                                // 0000000135C0: D1050005 20000D9D
	v_mul_f32_e64 v6, -v158, s6                                // 0000000135C8: D1050006 20000D9E
	v_mul_f32_e64 v7, -v159, s6                                // 0000000135D0: D1050007 20000D9F
	v_exp_f32_e32 v4, v4                                       // 0000000135D8: 7E084104
	v_exp_f32_e32 v5, v5                                       // 0000000135DC: 7E0A4105
	v_exp_f32_e32 v6, v6                                       // 0000000135E0: 7E0C4106
	v_exp_f32_e32 v7, v7                                       // 0000000135E4: 7E0E4107
	v_add_f32_e64 v4, v4, 1.0                                  // 0000000135E8: D1010004 0001E504
	v_add_f32_e64 v5, v5, 1.0                                  // 0000000135F0: D1010005 0001E505
	v_add_f32_e64 v6, v6, 1.0                                  // 0000000135F8: D1010006 0001E506
	v_add_f32_e64 v7, v7, 1.0                                  // 000000013600: D1010007 0001E507
	v_rcp_f32_e32 v4, v4                                       // 000000013608: 7E084504
	v_rcp_f32_e32 v5, v5                                       // 00000001360C: 7E0A4505
	v_rcp_f32_e32 v6, v6                                       // 000000013610: 7E0C4506
	v_rcp_f32_e32 v7, v7                                       // 000000013614: 7E0E4507
	v_mul_f32_e32 v156, v156, v4                               // 000000013618: 0B38099C
	v_mul_f32_e32 v157, v157, v5                               // 00000001361C: 0B3A0B9D
	v_mul_f32_e32 v158, v158, v6                               // 000000013620: 0B3C0D9E
	v_mul_f32_e32 v159, v159, v7                               // 000000013624: 0B3E0F9F
	v_mul_f32_e32 v156, v156, v228                             // 000000013628: 0B39C99C
	v_mul_f32_e32 v157, v157, v229                             // 00000001362C: 0B3BCB9D
	v_mul_f32_e32 v158, v158, v230                             // 000000013630: 0B3DCD9E
	v_mul_f32_e32 v159, v159, v231                             // 000000013634: 0B3FCF9F

0000000000013638 <label_4311>:
	s_cmp_eq_u32 s7, 0                                         // 000000013638: BF068007
	s_cbranch_scc0 label_4330                                  // 00000001363C: BF84001D
	v_and_b32_e32 v4, 15, v0                                   // 000000013640: 2608008F
	v_lshlrev_b32_e32 v4, 2, v4                                // 000000013644: 24080882
	buffer_load_dword v30, v4, s[12:15], 0 offen               // 000000013648: E0501000 80031E04
	v_add_u32_e32 v4, 64, v4                                   // 000000013650: 680808C0
	buffer_load_dword v31, v4, s[12:15], 0 offen               // 000000013654: E0501000 80031F04
	v_add_u32_e32 v4, 64, v4                                   // 00000001365C: 680808C0
	buffer_load_dword v32, v4, s[12:15], 0 offen               // 000000013660: E0501000 80032004
	v_add_u32_e32 v4, 64, v4                                   // 000000013668: 680808C0
	buffer_load_dword v33, v4, s[12:15], 0 offen               // 00000001366C: E0501000 80032104
	v_add_u32_e32 v4, 64, v4                                   // 000000013674: 680808C0
	buffer_load_dword v34, v4, s[12:15], 0 offen               // 000000013678: E0501000 80032204
	v_add_u32_e32 v4, 64, v4                                   // 000000013680: 680808C0
	buffer_load_dword v35, v4, s[12:15], 0 offen               // 000000013684: E0501000 80032304
	v_add_u32_e32 v4, 64, v4                                   // 00000001368C: 680808C0
	buffer_load_dword v36, v4, s[12:15], 0 offen               // 000000013690: E0501000 80032404
	v_add_u32_e32 v4, 64, v4                                   // 000000013698: 680808C0
	buffer_load_dword v37, v4, s[12:15], 0 offen               // 00000001369C: E0501000 80032504
	v_add_u32_e32 v4, 64, v4                                   // 0000000136A4: 680808C0
	buffer_load_dword v38, v4, s[12:15], 0 offen               // 0000000136A8: E0501000 80032604
	v_add_u32_e32 v4, 64, v4                                   // 0000000136B0: 680808C0

00000000000136b4 <label_4330>:
	v_lshlrev_b32_e32 v4, 2, v0                                // 0000000136B4: 24080082
	s_mul_i32 s60, 0x100, s7                                   // 0000000136B8: 923C07FF 00000100
	v_add_u32_e32 v169, s60, v4                                // 0000000136C0: 6952083C
	v_and_b32_e32 v4, 15, v0                                   // 0000000136C4: 2608008F
	v_lshlrev_b32_e32 v170, 2, v4                              // 0000000136C8: 25540882
	s_waitcnt lgkmcnt(0)                                       // 0000000136CC: BF8CC07F
	s_barrier                                                  // 0000000136D0: BF8A0000
	v_mov_b32_e32 v160, 0x358637bd                             // 0000000136D4: 7F4002FF 358637BD
	v_max3_f32 v160, |v88|, |v89|, v160                        // 0000000136DC: D1D303A0 0682B358
	v_max3_f32 v160, |v90|, |v91|, v160                        // 0000000136E4: D1D303A0 0682B75A
	v_max3_f32 v160, |v124|, |v125|, v160                      // 0000000136EC: D1D303A0 0682FB7C
	v_max3_f32 v160, |v126|, |v127|, v160                      // 0000000136F4: D1D303A0 0682FF7E
	ds_write_b32 v169, v160                                    // 0000000136FC: D81A0000 0000A0A9
	s_waitcnt lgkmcnt(0)                                       // 000000013704: BF8CC07F
	s_barrier                                                  // 000000013708: BF8A0000
	ds_read_b32 v4, v170                                       // 00000001370C: D86C0000 040000AA
	ds_read_b32 v5, v170 offset:64                             // 000000013714: D86C0040 050000AA
	ds_read_b32 v6, v170 offset:128                            // 00000001371C: D86C0080 060000AA
	ds_read_b32 v7, v170 offset:192                            // 000000013724: D86C00C0 070000AA
	ds_read_b32 v8, v170 offset:256                            // 00000001372C: D86C0100 080000AA
	ds_read_b32 v9, v170 offset:320                            // 000000013734: D86C0140 090000AA
	ds_read_b32 v10, v170 offset:384                           // 00000001373C: D86C0180 0A0000AA
	ds_read_b32 v11, v170 offset:448                           // 000000013744: D86C01C0 0B0000AA
	ds_read_b32 v12, v170 offset:512                           // 00000001374C: D86C0200 0C0000AA
	ds_read_b32 v13, v170 offset:576                           // 000000013754: D86C0240 0D0000AA
	ds_read_b32 v14, v170 offset:640                           // 00000001375C: D86C0280 0E0000AA
	ds_read_b32 v15, v170 offset:704                           // 000000013764: D86C02C0 0F0000AA
	ds_read_b32 v16, v170 offset:768                           // 00000001376C: D86C0300 100000AA
	ds_read_b32 v17, v170 offset:832                           // 000000013774: D86C0340 110000AA
	ds_read_b32 v18, v170 offset:896                           // 00000001377C: D86C0380 120000AA
	ds_read_b32 v19, v170 offset:960                           // 000000013784: D86C03C0 130000AA
	s_waitcnt lgkmcnt(0)                                       // 00000001378C: BF8CC07F
	s_barrier                                                  // 000000013790: BF8A0000
	v_max3_f32 v160, |v4|, |v5|, v160                          // 000000013794: D1D303A0 06820B04
	v_max3_f32 v160, |v6|, |v7|, v160                          // 00000001379C: D1D303A0 06820F06
	v_max3_f32 v160, |v8|, |v9|, v160                          // 0000000137A4: D1D303A0 06821308
	v_max3_f32 v160, |v10|, |v11|, v160                        // 0000000137AC: D1D303A0 0682170A
	v_max3_f32 v160, |v12|, |v13|, v160                        // 0000000137B4: D1D303A0 06821B0C
	v_max3_f32 v160, |v14|, |v15|, v160                        // 0000000137BC: D1D303A0 06821F0E
	v_max3_f32 v160, |v16|, |v17|, v160                        // 0000000137C4: D1D303A0 06822310
	v_max3_f32 v160, |v18|, |v19|, v160                        // 0000000137CC: D1D303A0 06822712
	v_rcp_f32_e32 v160, v160                                   // 0000000137D4: 7F4045A0
	v_mov_b32_e32 v4, 0x43700000                               // 0000000137D8: 7E0802FF 43700000
	v_mul_f32_e32 v160, v4, v160                               // 0000000137E0: 0B414104
	v_mov_b32_e32 v4, v160                                     // 0000000137E4: 7E0803A0
	v_mov_b32_e32 v5, v4                                       // 0000000137E8: 7E0A0304
	v_pk_mul_f32 v[88:89], v[4:5], v[88:89]                    // 0000000137EC: D3B14058 1802B104
	v_pk_mul_f32 v[90:91], v[4:5], v[90:91]                    // 0000000137F4: D3B1405A 1802B504
	v_cvt_pk_fp8_f32 v88, v88, v89                             // 0000000137FC: D2A20058 0002B358
	v_cvt_pk_fp8_f32 v88, v90, v91 op_sel:[0,0,1]              // 000000013804: D2A24058 0002B75A
	v_pk_mul_f32 v[124:125], v[4:5], v[124:125]                // 00000001380C: D3B1407C 1802F904
	v_pk_mul_f32 v[126:127], v[4:5], v[126:127]                // 000000013814: D3B1407E 1802FD04
	v_cvt_pk_fp8_f32 v124, v124, v125                          // 00000001381C: D2A2007C 0002FB7C
	v_cvt_pk_fp8_f32 v124, v126, v127 op_sel:[0,0,1]           // 000000013824: D2A2407C 0002FF7E
	v_rcp_f32_e32 v160, v160                                   // 00000001382C: 7F4045A0
	v_mov_b32_e32 v161, 0x358637bd                             // 000000013830: 7F4202FF 358637BD
	v_max3_f32 v161, |v92|, |v93|, v161                        // 000000013838: D1D303A1 0686BB5C
	v_max3_f32 v161, |v94|, |v95|, v161                        // 000000013840: D1D303A1 0686BF5E
	v_max3_f32 v161, |v128|, |v129|, v161                      // 000000013848: D1D303A1 06870380
	v_max3_f32 v161, |v130|, |v131|, v161                      // 000000013850: D1D303A1 06870782
	ds_write_b32 v169, v161                                    // 000000013858: D81A0000 0000A1A9
	s_waitcnt lgkmcnt(0)                                       // 000000013860: BF8CC07F
	s_barrier                                                  // 000000013864: BF8A0000
	ds_read_b32 v4, v170                                       // 000000013868: D86C0000 040000AA
	ds_read_b32 v5, v170 offset:64                             // 000000013870: D86C0040 050000AA
	ds_read_b32 v6, v170 offset:128                            // 000000013878: D86C0080 060000AA
	ds_read_b32 v7, v170 offset:192                            // 000000013880: D86C00C0 070000AA
	ds_read_b32 v8, v170 offset:256                            // 000000013888: D86C0100 080000AA
	ds_read_b32 v9, v170 offset:320                            // 000000013890: D86C0140 090000AA
	ds_read_b32 v10, v170 offset:384                           // 000000013898: D86C0180 0A0000AA
	ds_read_b32 v11, v170 offset:448                           // 0000000138A0: D86C01C0 0B0000AA
	ds_read_b32 v12, v170 offset:512                           // 0000000138A8: D86C0200 0C0000AA
	ds_read_b32 v13, v170 offset:576                           // 0000000138B0: D86C0240 0D0000AA
	ds_read_b32 v14, v170 offset:640                           // 0000000138B8: D86C0280 0E0000AA
	ds_read_b32 v15, v170 offset:704                           // 0000000138C0: D86C02C0 0F0000AA
	ds_read_b32 v16, v170 offset:768                           // 0000000138C8: D86C0300 100000AA
	ds_read_b32 v17, v170 offset:832                           // 0000000138D0: D86C0340 110000AA
	ds_read_b32 v18, v170 offset:896                           // 0000000138D8: D86C0380 120000AA
	ds_read_b32 v19, v170 offset:960                           // 0000000138E0: D86C03C0 130000AA
	s_waitcnt lgkmcnt(0)                                       // 0000000138E8: BF8CC07F
	s_barrier                                                  // 0000000138EC: BF8A0000
	v_max3_f32 v161, |v4|, |v5|, v161                          // 0000000138F0: D1D303A1 06860B04
	v_max3_f32 v161, |v6|, |v7|, v161                          // 0000000138F8: D1D303A1 06860F06
	v_max3_f32 v161, |v8|, |v9|, v161                          // 000000013900: D1D303A1 06861308
	v_max3_f32 v161, |v10|, |v11|, v161                        // 000000013908: D1D303A1 0686170A
	v_max3_f32 v161, |v12|, |v13|, v161                        // 000000013910: D1D303A1 06861B0C
	v_max3_f32 v161, |v14|, |v15|, v161                        // 000000013918: D1D303A1 06861F0E
	v_max3_f32 v161, |v16|, |v17|, v161                        // 000000013920: D1D303A1 06862310
	v_max3_f32 v161, |v18|, |v19|, v161                        // 000000013928: D1D303A1 06862712
	v_rcp_f32_e32 v161, v161                                   // 000000013930: 7F4245A1
	v_mov_b32_e32 v4, 0x43700000                               // 000000013934: 7E0802FF 43700000
	v_mul_f32_e32 v161, v4, v161                               // 00000001393C: 0B434304
	v_mov_b32_e32 v4, v161                                     // 000000013940: 7E0803A1
	v_mov_b32_e32 v5, v4                                       // 000000013944: 7E0A0304
	v_pk_mul_f32 v[92:93], v[4:5], v[92:93]                    // 000000013948: D3B1405C 1802B904
	v_pk_mul_f32 v[94:95], v[4:5], v[94:95]                    // 000000013950: D3B1405E 1802BD04
	v_cvt_pk_fp8_f32 v92, v92, v93                             // 000000013958: D2A2005C 0002BB5C
	v_cvt_pk_fp8_f32 v92, v94, v95 op_sel:[0,0,1]              // 000000013960: D2A2405C 0002BF5E
	v_pk_mul_f32 v[128:129], v[4:5], v[128:129]                // 000000013968: D3B14080 18030104
	v_pk_mul_f32 v[130:131], v[4:5], v[130:131]                // 000000013970: D3B14082 18030504
	v_cvt_pk_fp8_f32 v128, v128, v129                          // 000000013978: D2A20080 00030380
	v_cvt_pk_fp8_f32 v128, v130, v131 op_sel:[0,0,1]           // 000000013980: D2A24080 00030782
	v_rcp_f32_e32 v161, v161                                   // 000000013988: 7F4245A1
	v_mov_b32_e32 v162, 0x358637bd                             // 00000001398C: 7F4402FF 358637BD
	v_max3_f32 v162, |v96|, |v97|, v162                        // 000000013994: D1D303A2 068AC360
	v_max3_f32 v162, |v98|, |v99|, v162                        // 00000001399C: D1D303A2 068AC762
	v_max3_f32 v162, |v132|, |v133|, v162                      // 0000000139A4: D1D303A2 068B0B84
	v_max3_f32 v162, |v134|, |v135|, v162                      // 0000000139AC: D1D303A2 068B0F86
	ds_write_b32 v169, v162                                    // 0000000139B4: D81A0000 0000A2A9
	s_waitcnt lgkmcnt(0)                                       // 0000000139BC: BF8CC07F
	s_barrier                                                  // 0000000139C0: BF8A0000
	ds_read_b32 v4, v170                                       // 0000000139C4: D86C0000 040000AA
	ds_read_b32 v5, v170 offset:64                             // 0000000139CC: D86C0040 050000AA
	ds_read_b32 v6, v170 offset:128                            // 0000000139D4: D86C0080 060000AA
	ds_read_b32 v7, v170 offset:192                            // 0000000139DC: D86C00C0 070000AA
	ds_read_b32 v8, v170 offset:256                            // 0000000139E4: D86C0100 080000AA
	ds_read_b32 v9, v170 offset:320                            // 0000000139EC: D86C0140 090000AA
	ds_read_b32 v10, v170 offset:384                           // 0000000139F4: D86C0180 0A0000AA
	ds_read_b32 v11, v170 offset:448                           // 0000000139FC: D86C01C0 0B0000AA
	ds_read_b32 v12, v170 offset:512                           // 000000013A04: D86C0200 0C0000AA
	ds_read_b32 v13, v170 offset:576                           // 000000013A0C: D86C0240 0D0000AA
	ds_read_b32 v14, v170 offset:640                           // 000000013A14: D86C0280 0E0000AA
	ds_read_b32 v15, v170 offset:704                           // 000000013A1C: D86C02C0 0F0000AA
	ds_read_b32 v16, v170 offset:768                           // 000000013A24: D86C0300 100000AA
	ds_read_b32 v17, v170 offset:832                           // 000000013A2C: D86C0340 110000AA
	ds_read_b32 v18, v170 offset:896                           // 000000013A34: D86C0380 120000AA
	ds_read_b32 v19, v170 offset:960                           // 000000013A3C: D86C03C0 130000AA
	s_waitcnt lgkmcnt(0)                                       // 000000013A44: BF8CC07F
	s_barrier                                                  // 000000013A48: BF8A0000
	v_max3_f32 v162, |v4|, |v5|, v162                          // 000000013A4C: D1D303A2 068A0B04
	v_max3_f32 v162, |v6|, |v7|, v162                          // 000000013A54: D1D303A2 068A0F06
	v_max3_f32 v162, |v8|, |v9|, v162                          // 000000013A5C: D1D303A2 068A1308
	v_max3_f32 v162, |v10|, |v11|, v162                        // 000000013A64: D1D303A2 068A170A
	v_max3_f32 v162, |v12|, |v13|, v162                        // 000000013A6C: D1D303A2 068A1B0C
	v_max3_f32 v162, |v14|, |v15|, v162                        // 000000013A74: D1D303A2 068A1F0E
	v_max3_f32 v162, |v16|, |v17|, v162                        // 000000013A7C: D1D303A2 068A2310
	v_max3_f32 v162, |v18|, |v19|, v162                        // 000000013A84: D1D303A2 068A2712
	v_rcp_f32_e32 v162, v162                                   // 000000013A8C: 7F4445A2
	v_mov_b32_e32 v4, 0x43700000                               // 000000013A90: 7E0802FF 43700000
	v_mul_f32_e32 v162, v4, v162                               // 000000013A98: 0B454504
	v_mov_b32_e32 v4, v162                                     // 000000013A9C: 7E0803A2
	v_mov_b32_e32 v5, v4                                       // 000000013AA0: 7E0A0304
	v_pk_mul_f32 v[96:97], v[4:5], v[96:97]                    // 000000013AA4: D3B14060 1802C104
	v_pk_mul_f32 v[98:99], v[4:5], v[98:99]                    // 000000013AAC: D3B14062 1802C504
	v_cvt_pk_fp8_f32 v96, v96, v97                             // 000000013AB4: D2A20060 0002C360
	v_cvt_pk_fp8_f32 v96, v98, v99 op_sel:[0,0,1]              // 000000013ABC: D2A24060 0002C762
	v_pk_mul_f32 v[132:133], v[4:5], v[132:133]                // 000000013AC4: D3B14084 18030904
	v_pk_mul_f32 v[134:135], v[4:5], v[134:135]                // 000000013ACC: D3B14086 18030D04
	v_cvt_pk_fp8_f32 v132, v132, v133                          // 000000013AD4: D2A20084 00030B84
	v_cvt_pk_fp8_f32 v132, v134, v135 op_sel:[0,0,1]           // 000000013ADC: D2A24084 00030F86
	v_rcp_f32_e32 v162, v162                                   // 000000013AE4: 7F4445A2
	v_mov_b32_e32 v163, 0x358637bd                             // 000000013AE8: 7F4602FF 358637BD
	v_max3_f32 v163, |v100|, |v101|, v163                      // 000000013AF0: D1D303A3 068ECB64
	v_max3_f32 v163, |v102|, |v103|, v163                      // 000000013AF8: D1D303A3 068ECF66
	v_max3_f32 v163, |v136|, |v137|, v163                      // 000000013B00: D1D303A3 068F1388
	v_max3_f32 v163, |v138|, |v139|, v163                      // 000000013B08: D1D303A3 068F178A
	ds_write_b32 v169, v163                                    // 000000013B10: D81A0000 0000A3A9
	s_waitcnt lgkmcnt(0)                                       // 000000013B18: BF8CC07F
	s_barrier                                                  // 000000013B1C: BF8A0000
	ds_read_b32 v4, v170                                       // 000000013B20: D86C0000 040000AA
	ds_read_b32 v5, v170 offset:64                             // 000000013B28: D86C0040 050000AA
	ds_read_b32 v6, v170 offset:128                            // 000000013B30: D86C0080 060000AA
	ds_read_b32 v7, v170 offset:192                            // 000000013B38: D86C00C0 070000AA
	ds_read_b32 v8, v170 offset:256                            // 000000013B40: D86C0100 080000AA
	ds_read_b32 v9, v170 offset:320                            // 000000013B48: D86C0140 090000AA
	ds_read_b32 v10, v170 offset:384                           // 000000013B50: D86C0180 0A0000AA
	ds_read_b32 v11, v170 offset:448                           // 000000013B58: D86C01C0 0B0000AA
	ds_read_b32 v12, v170 offset:512                           // 000000013B60: D86C0200 0C0000AA
	ds_read_b32 v13, v170 offset:576                           // 000000013B68: D86C0240 0D0000AA
	ds_read_b32 v14, v170 offset:640                           // 000000013B70: D86C0280 0E0000AA
	ds_read_b32 v15, v170 offset:704                           // 000000013B78: D86C02C0 0F0000AA
	ds_read_b32 v16, v170 offset:768                           // 000000013B80: D86C0300 100000AA
	ds_read_b32 v17, v170 offset:832                           // 000000013B88: D86C0340 110000AA
	ds_read_b32 v18, v170 offset:896                           // 000000013B90: D86C0380 120000AA
	ds_read_b32 v19, v170 offset:960                           // 000000013B98: D86C03C0 130000AA
	s_waitcnt lgkmcnt(0)                                       // 000000013BA0: BF8CC07F
	s_barrier                                                  // 000000013BA4: BF8A0000
	v_max3_f32 v163, |v4|, |v5|, v163                          // 000000013BA8: D1D303A3 068E0B04
	v_max3_f32 v163, |v6|, |v7|, v163                          // 000000013BB0: D1D303A3 068E0F06
	v_max3_f32 v163, |v8|, |v9|, v163                          // 000000013BB8: D1D303A3 068E1308
	v_max3_f32 v163, |v10|, |v11|, v163                        // 000000013BC0: D1D303A3 068E170A
	v_max3_f32 v163, |v12|, |v13|, v163                        // 000000013BC8: D1D303A3 068E1B0C
	v_max3_f32 v163, |v14|, |v15|, v163                        // 000000013BD0: D1D303A3 068E1F0E
	v_max3_f32 v163, |v16|, |v17|, v163                        // 000000013BD8: D1D303A3 068E2310
	v_max3_f32 v163, |v18|, |v19|, v163                        // 000000013BE0: D1D303A3 068E2712
	v_rcp_f32_e32 v163, v163                                   // 000000013BE8: 7F4645A3
	v_mov_b32_e32 v4, 0x43700000                               // 000000013BEC: 7E0802FF 43700000
	v_mul_f32_e32 v163, v4, v163                               // 000000013BF4: 0B474704
	v_mov_b32_e32 v4, v163                                     // 000000013BF8: 7E0803A3
	v_mov_b32_e32 v5, v4                                       // 000000013BFC: 7E0A0304
	v_pk_mul_f32 v[100:101], v[4:5], v[100:101]                // 000000013C00: D3B14064 1802C904
	v_pk_mul_f32 v[102:103], v[4:5], v[102:103]                // 000000013C08: D3B14066 1802CD04
	v_cvt_pk_fp8_f32 v100, v100, v101                          // 000000013C10: D2A20064 0002CB64
	v_cvt_pk_fp8_f32 v100, v102, v103 op_sel:[0,0,1]           // 000000013C18: D2A24064 0002CF66
	v_pk_mul_f32 v[136:137], v[4:5], v[136:137]                // 000000013C20: D3B14088 18031104
	v_pk_mul_f32 v[138:139], v[4:5], v[138:139]                // 000000013C28: D3B1408A 18031504
	v_cvt_pk_fp8_f32 v136, v136, v137                          // 000000013C30: D2A20088 00031388
	v_cvt_pk_fp8_f32 v136, v138, v139 op_sel:[0,0,1]           // 000000013C38: D2A24088 0003178A
	v_rcp_f32_e32 v163, v163                                   // 000000013C40: 7F4645A3
	v_mov_b32_e32 v164, 0x358637bd                             // 000000013C44: 7F4802FF 358637BD
	v_max3_f32 v164, |v104|, |v105|, v164                      // 000000013C4C: D1D303A4 0692D368
	v_max3_f32 v164, |v106|, |v107|, v164                      // 000000013C54: D1D303A4 0692D76A
	v_max3_f32 v164, |v140|, |v141|, v164                      // 000000013C5C: D1D303A4 06931B8C
	v_max3_f32 v164, |v142|, |v143|, v164                      // 000000013C64: D1D303A4 06931F8E
	ds_write_b32 v169, v164                                    // 000000013C6C: D81A0000 0000A4A9
	s_waitcnt lgkmcnt(0)                                       // 000000013C74: BF8CC07F
	s_barrier                                                  // 000000013C78: BF8A0000
	ds_read_b32 v4, v170                                       // 000000013C7C: D86C0000 040000AA
	ds_read_b32 v5, v170 offset:64                             // 000000013C84: D86C0040 050000AA
	ds_read_b32 v6, v170 offset:128                            // 000000013C8C: D86C0080 060000AA
	ds_read_b32 v7, v170 offset:192                            // 000000013C94: D86C00C0 070000AA
	ds_read_b32 v8, v170 offset:256                            // 000000013C9C: D86C0100 080000AA
	ds_read_b32 v9, v170 offset:320                            // 000000013CA4: D86C0140 090000AA
	ds_read_b32 v10, v170 offset:384                           // 000000013CAC: D86C0180 0A0000AA
	ds_read_b32 v11, v170 offset:448                           // 000000013CB4: D86C01C0 0B0000AA
	ds_read_b32 v12, v170 offset:512                           // 000000013CBC: D86C0200 0C0000AA
	ds_read_b32 v13, v170 offset:576                           // 000000013CC4: D86C0240 0D0000AA
	ds_read_b32 v14, v170 offset:640                           // 000000013CCC: D86C0280 0E0000AA
	ds_read_b32 v15, v170 offset:704                           // 000000013CD4: D86C02C0 0F0000AA
	ds_read_b32 v16, v170 offset:768                           // 000000013CDC: D86C0300 100000AA
	ds_read_b32 v17, v170 offset:832                           // 000000013CE4: D86C0340 110000AA
	ds_read_b32 v18, v170 offset:896                           // 000000013CEC: D86C0380 120000AA
	ds_read_b32 v19, v170 offset:960                           // 000000013CF4: D86C03C0 130000AA
	s_waitcnt lgkmcnt(0)                                       // 000000013CFC: BF8CC07F
	s_barrier                                                  // 000000013D00: BF8A0000
	v_max3_f32 v164, |v4|, |v5|, v164                          // 000000013D04: D1D303A4 06920B04
	v_max3_f32 v164, |v6|, |v7|, v164                          // 000000013D0C: D1D303A4 06920F06
	v_max3_f32 v164, |v8|, |v9|, v164                          // 000000013D14: D1D303A4 06921308
	v_max3_f32 v164, |v10|, |v11|, v164                        // 000000013D1C: D1D303A4 0692170A
	v_max3_f32 v164, |v12|, |v13|, v164                        // 000000013D24: D1D303A4 06921B0C
	v_max3_f32 v164, |v14|, |v15|, v164                        // 000000013D2C: D1D303A4 06921F0E
	v_max3_f32 v164, |v16|, |v17|, v164                        // 000000013D34: D1D303A4 06922310
	v_max3_f32 v164, |v18|, |v19|, v164                        // 000000013D3C: D1D303A4 06922712
	v_rcp_f32_e32 v164, v164                                   // 000000013D44: 7F4845A4
	v_mov_b32_e32 v4, 0x43700000                               // 000000013D48: 7E0802FF 43700000
	v_mul_f32_e32 v164, v4, v164                               // 000000013D50: 0B494904
	v_mov_b32_e32 v4, v164                                     // 000000013D54: 7E0803A4
	v_mov_b32_e32 v5, v4                                       // 000000013D58: 7E0A0304
	v_pk_mul_f32 v[104:105], v[4:5], v[104:105]                // 000000013D5C: D3B14068 1802D104
	v_pk_mul_f32 v[106:107], v[4:5], v[106:107]                // 000000013D64: D3B1406A 1802D504
	v_cvt_pk_fp8_f32 v104, v104, v105                          // 000000013D6C: D2A20068 0002D368
	v_cvt_pk_fp8_f32 v104, v106, v107 op_sel:[0,0,1]           // 000000013D74: D2A24068 0002D76A
	v_pk_mul_f32 v[140:141], v[4:5], v[140:141]                // 000000013D7C: D3B1408C 18031904
	v_pk_mul_f32 v[142:143], v[4:5], v[142:143]                // 000000013D84: D3B1408E 18031D04
	v_cvt_pk_fp8_f32 v140, v140, v141                          // 000000013D8C: D2A2008C 00031B8C
	v_cvt_pk_fp8_f32 v140, v142, v143 op_sel:[0,0,1]           // 000000013D94: D2A2408C 00031F8E
	v_rcp_f32_e32 v164, v164                                   // 000000013D9C: 7F4845A4
	v_mov_b32_e32 v165, 0x358637bd                             // 000000013DA0: 7F4A02FF 358637BD
	v_max3_f32 v165, |v108|, |v109|, v165                      // 000000013DA8: D1D303A5 0696DB6C
	v_max3_f32 v165, |v110|, |v111|, v165                      // 000000013DB0: D1D303A5 0696DF6E
	v_max3_f32 v165, |v144|, |v145|, v165                      // 000000013DB8: D1D303A5 06972390
	v_max3_f32 v165, |v146|, |v147|, v165                      // 000000013DC0: D1D303A5 06972792
	ds_write_b32 v169, v165                                    // 000000013DC8: D81A0000 0000A5A9
	s_waitcnt lgkmcnt(0)                                       // 000000013DD0: BF8CC07F
	s_barrier                                                  // 000000013DD4: BF8A0000
	ds_read_b32 v4, v170                                       // 000000013DD8: D86C0000 040000AA
	ds_read_b32 v5, v170 offset:64                             // 000000013DE0: D86C0040 050000AA
	ds_read_b32 v6, v170 offset:128                            // 000000013DE8: D86C0080 060000AA
	ds_read_b32 v7, v170 offset:192                            // 000000013DF0: D86C00C0 070000AA
	ds_read_b32 v8, v170 offset:256                            // 000000013DF8: D86C0100 080000AA
	ds_read_b32 v9, v170 offset:320                            // 000000013E00: D86C0140 090000AA
	ds_read_b32 v10, v170 offset:384                           // 000000013E08: D86C0180 0A0000AA
	ds_read_b32 v11, v170 offset:448                           // 000000013E10: D86C01C0 0B0000AA
	ds_read_b32 v12, v170 offset:512                           // 000000013E18: D86C0200 0C0000AA
	ds_read_b32 v13, v170 offset:576                           // 000000013E20: D86C0240 0D0000AA
	ds_read_b32 v14, v170 offset:640                           // 000000013E28: D86C0280 0E0000AA
	ds_read_b32 v15, v170 offset:704                           // 000000013E30: D86C02C0 0F0000AA
	ds_read_b32 v16, v170 offset:768                           // 000000013E38: D86C0300 100000AA
	ds_read_b32 v17, v170 offset:832                           // 000000013E40: D86C0340 110000AA
	ds_read_b32 v18, v170 offset:896                           // 000000013E48: D86C0380 120000AA
	ds_read_b32 v19, v170 offset:960                           // 000000013E50: D86C03C0 130000AA
	s_waitcnt lgkmcnt(0)                                       // 000000013E58: BF8CC07F
	s_barrier                                                  // 000000013E5C: BF8A0000
	v_max3_f32 v165, |v4|, |v5|, v165                          // 000000013E60: D1D303A5 06960B04
	v_max3_f32 v165, |v6|, |v7|, v165                          // 000000013E68: D1D303A5 06960F06
	v_max3_f32 v165, |v8|, |v9|, v165                          // 000000013E70: D1D303A5 06961308
	v_max3_f32 v165, |v10|, |v11|, v165                        // 000000013E78: D1D303A5 0696170A
	v_max3_f32 v165, |v12|, |v13|, v165                        // 000000013E80: D1D303A5 06961B0C
	v_max3_f32 v165, |v14|, |v15|, v165                        // 000000013E88: D1D303A5 06961F0E
	v_max3_f32 v165, |v16|, |v17|, v165                        // 000000013E90: D1D303A5 06962310
	v_max3_f32 v165, |v18|, |v19|, v165                        // 000000013E98: D1D303A5 06962712
	v_rcp_f32_e32 v165, v165                                   // 000000013EA0: 7F4A45A5
	v_mov_b32_e32 v4, 0x43700000                               // 000000013EA4: 7E0802FF 43700000
	v_mul_f32_e32 v165, v4, v165                               // 000000013EAC: 0B4B4B04
	v_mov_b32_e32 v4, v165                                     // 000000013EB0: 7E0803A5
	v_mov_b32_e32 v5, v4                                       // 000000013EB4: 7E0A0304
	v_pk_mul_f32 v[108:109], v[4:5], v[108:109]                // 000000013EB8: D3B1406C 1802D904
	v_pk_mul_f32 v[110:111], v[4:5], v[110:111]                // 000000013EC0: D3B1406E 1802DD04
	v_cvt_pk_fp8_f32 v108, v108, v109                          // 000000013EC8: D2A2006C 0002DB6C
	v_cvt_pk_fp8_f32 v108, v110, v111 op_sel:[0,0,1]           // 000000013ED0: D2A2406C 0002DF6E
	v_pk_mul_f32 v[144:145], v[4:5], v[144:145]                // 000000013ED8: D3B14090 18032104
	v_pk_mul_f32 v[146:147], v[4:5], v[146:147]                // 000000013EE0: D3B14092 18032504
	v_cvt_pk_fp8_f32 v144, v144, v145                          // 000000013EE8: D2A20090 00032390
	v_cvt_pk_fp8_f32 v144, v146, v147 op_sel:[0,0,1]           // 000000013EF0: D2A24090 00032792
	v_rcp_f32_e32 v165, v165                                   // 000000013EF8: 7F4A45A5
	v_mov_b32_e32 v166, 0x358637bd                             // 000000013EFC: 7F4C02FF 358637BD
	v_max3_f32 v166, |v112|, |v113|, v166                      // 000000013F04: D1D303A6 069AE370
	v_max3_f32 v166, |v114|, |v115|, v166                      // 000000013F0C: D1D303A6 069AE772
	v_max3_f32 v166, |v148|, |v149|, v166                      // 000000013F14: D1D303A6 069B2B94
	v_max3_f32 v166, |v150|, |v151|, v166                      // 000000013F1C: D1D303A6 069B2F96
	ds_write_b32 v169, v166                                    // 000000013F24: D81A0000 0000A6A9
	s_waitcnt lgkmcnt(0)                                       // 000000013F2C: BF8CC07F
	s_barrier                                                  // 000000013F30: BF8A0000
	ds_read_b32 v4, v170                                       // 000000013F34: D86C0000 040000AA
	ds_read_b32 v5, v170 offset:64                             // 000000013F3C: D86C0040 050000AA
	ds_read_b32 v6, v170 offset:128                            // 000000013F44: D86C0080 060000AA
	ds_read_b32 v7, v170 offset:192                            // 000000013F4C: D86C00C0 070000AA
	ds_read_b32 v8, v170 offset:256                            // 000000013F54: D86C0100 080000AA
	ds_read_b32 v9, v170 offset:320                            // 000000013F5C: D86C0140 090000AA
	ds_read_b32 v10, v170 offset:384                           // 000000013F64: D86C0180 0A0000AA
	ds_read_b32 v11, v170 offset:448                           // 000000013F6C: D86C01C0 0B0000AA
	ds_read_b32 v12, v170 offset:512                           // 000000013F74: D86C0200 0C0000AA
	ds_read_b32 v13, v170 offset:576                           // 000000013F7C: D86C0240 0D0000AA
	ds_read_b32 v14, v170 offset:640                           // 000000013F84: D86C0280 0E0000AA
	ds_read_b32 v15, v170 offset:704                           // 000000013F8C: D86C02C0 0F0000AA
	ds_read_b32 v16, v170 offset:768                           // 000000013F94: D86C0300 100000AA
	ds_read_b32 v17, v170 offset:832                           // 000000013F9C: D86C0340 110000AA
	ds_read_b32 v18, v170 offset:896                           // 000000013FA4: D86C0380 120000AA
	ds_read_b32 v19, v170 offset:960                           // 000000013FAC: D86C03C0 130000AA
	s_waitcnt lgkmcnt(0)                                       // 000000013FB4: BF8CC07F
	s_barrier                                                  // 000000013FB8: BF8A0000
	v_max3_f32 v166, |v4|, |v5|, v166                          // 000000013FBC: D1D303A6 069A0B04
	v_max3_f32 v166, |v6|, |v7|, v166                          // 000000013FC4: D1D303A6 069A0F06
	v_max3_f32 v166, |v8|, |v9|, v166                          // 000000013FCC: D1D303A6 069A1308
	v_max3_f32 v166, |v10|, |v11|, v166                        // 000000013FD4: D1D303A6 069A170A
	v_max3_f32 v166, |v12|, |v13|, v166                        // 000000013FDC: D1D303A6 069A1B0C
	v_max3_f32 v166, |v14|, |v15|, v166                        // 000000013FE4: D1D303A6 069A1F0E
	v_max3_f32 v166, |v16|, |v17|, v166                        // 000000013FEC: D1D303A6 069A2310
	v_max3_f32 v166, |v18|, |v19|, v166                        // 000000013FF4: D1D303A6 069A2712
	v_rcp_f32_e32 v166, v166                                   // 000000013FFC: 7F4C45A6
	v_mov_b32_e32 v4, 0x43700000                               // 000000014000: 7E0802FF 43700000
	v_mul_f32_e32 v166, v4, v166                               // 000000014008: 0B4D4D04
	v_mov_b32_e32 v4, v166                                     // 00000001400C: 7E0803A6
	v_mov_b32_e32 v5, v4                                       // 000000014010: 7E0A0304
	v_pk_mul_f32 v[112:113], v[4:5], v[112:113]                // 000000014014: D3B14070 1802E104
	v_pk_mul_f32 v[114:115], v[4:5], v[114:115]                // 00000001401C: D3B14072 1802E504
	v_cvt_pk_fp8_f32 v112, v112, v113                          // 000000014024: D2A20070 0002E370
	v_cvt_pk_fp8_f32 v112, v114, v115 op_sel:[0,0,1]           // 00000001402C: D2A24070 0002E772
	v_pk_mul_f32 v[148:149], v[4:5], v[148:149]                // 000000014034: D3B14094 18032904
	v_pk_mul_f32 v[150:151], v[4:5], v[150:151]                // 00000001403C: D3B14096 18032D04
	v_cvt_pk_fp8_f32 v148, v148, v149                          // 000000014044: D2A20094 00032B94
	v_cvt_pk_fp8_f32 v148, v150, v151 op_sel:[0,0,1]           // 00000001404C: D2A24094 00032F96
	v_rcp_f32_e32 v166, v166                                   // 000000014054: 7F4C45A6
	v_mov_b32_e32 v167, 0x358637bd                             // 000000014058: 7F4E02FF 358637BD
	v_max3_f32 v167, |v116|, |v117|, v167                      // 000000014060: D1D303A7 069EEB74
	v_max3_f32 v167, |v118|, |v119|, v167                      // 000000014068: D1D303A7 069EEF76
	v_max3_f32 v167, |v152|, |v153|, v167                      // 000000014070: D1D303A7 069F3398
	v_max3_f32 v167, |v154|, |v155|, v167                      // 000000014078: D1D303A7 069F379A
	ds_write_b32 v169, v167                                    // 000000014080: D81A0000 0000A7A9
	s_waitcnt lgkmcnt(0)                                       // 000000014088: BF8CC07F
	s_barrier                                                  // 00000001408C: BF8A0000
	ds_read_b32 v4, v170                                       // 000000014090: D86C0000 040000AA
	ds_read_b32 v5, v170 offset:64                             // 000000014098: D86C0040 050000AA
	ds_read_b32 v6, v170 offset:128                            // 0000000140A0: D86C0080 060000AA
	ds_read_b32 v7, v170 offset:192                            // 0000000140A8: D86C00C0 070000AA
	ds_read_b32 v8, v170 offset:256                            // 0000000140B0: D86C0100 080000AA
	ds_read_b32 v9, v170 offset:320                            // 0000000140B8: D86C0140 090000AA
	ds_read_b32 v10, v170 offset:384                           // 0000000140C0: D86C0180 0A0000AA
	ds_read_b32 v11, v170 offset:448                           // 0000000140C8: D86C01C0 0B0000AA
	ds_read_b32 v12, v170 offset:512                           // 0000000140D0: D86C0200 0C0000AA
	ds_read_b32 v13, v170 offset:576                           // 0000000140D8: D86C0240 0D0000AA
	ds_read_b32 v14, v170 offset:640                           // 0000000140E0: D86C0280 0E0000AA
	ds_read_b32 v15, v170 offset:704                           // 0000000140E8: D86C02C0 0F0000AA
	ds_read_b32 v16, v170 offset:768                           // 0000000140F0: D86C0300 100000AA
	ds_read_b32 v17, v170 offset:832                           // 0000000140F8: D86C0340 110000AA
	ds_read_b32 v18, v170 offset:896                           // 000000014100: D86C0380 120000AA
	ds_read_b32 v19, v170 offset:960                           // 000000014108: D86C03C0 130000AA
	s_waitcnt lgkmcnt(0)                                       // 000000014110: BF8CC07F
	s_barrier                                                  // 000000014114: BF8A0000
	v_max3_f32 v167, |v4|, |v5|, v167                          // 000000014118: D1D303A7 069E0B04
	v_max3_f32 v167, |v6|, |v7|, v167                          // 000000014120: D1D303A7 069E0F06
	v_max3_f32 v167, |v8|, |v9|, v167                          // 000000014128: D1D303A7 069E1308
	v_max3_f32 v167, |v10|, |v11|, v167                        // 000000014130: D1D303A7 069E170A
	v_max3_f32 v167, |v12|, |v13|, v167                        // 000000014138: D1D303A7 069E1B0C
	v_max3_f32 v167, |v14|, |v15|, v167                        // 000000014140: D1D303A7 069E1F0E
	v_max3_f32 v167, |v16|, |v17|, v167                        // 000000014148: D1D303A7 069E2310
	v_max3_f32 v167, |v18|, |v19|, v167                        // 000000014150: D1D303A7 069E2712
	v_rcp_f32_e32 v167, v167                                   // 000000014158: 7F4E45A7
	v_mov_b32_e32 v4, 0x43700000                               // 00000001415C: 7E0802FF 43700000
	v_mul_f32_e32 v167, v4, v167                               // 000000014164: 0B4F4F04
	v_mov_b32_e32 v4, v167                                     // 000000014168: 7E0803A7
	v_mov_b32_e32 v5, v4                                       // 00000001416C: 7E0A0304
	v_pk_mul_f32 v[116:117], v[4:5], v[116:117]                // 000000014170: D3B14074 1802E904
	v_pk_mul_f32 v[118:119], v[4:5], v[118:119]                // 000000014178: D3B14076 1802ED04
	v_cvt_pk_fp8_f32 v116, v116, v117                          // 000000014180: D2A20074 0002EB74
	v_cvt_pk_fp8_f32 v116, v118, v119 op_sel:[0,0,1]           // 000000014188: D2A24074 0002EF76
	v_pk_mul_f32 v[152:153], v[4:5], v[152:153]                // 000000014190: D3B14098 18033104
	v_pk_mul_f32 v[154:155], v[4:5], v[154:155]                // 000000014198: D3B1409A 18033504
	v_cvt_pk_fp8_f32 v152, v152, v153                          // 0000000141A0: D2A20098 00033398
	v_cvt_pk_fp8_f32 v152, v154, v155 op_sel:[0,0,1]           // 0000000141A8: D2A24098 0003379A
	v_rcp_f32_e32 v167, v167                                   // 0000000141B0: 7F4E45A7
	v_mov_b32_e32 v168, 0x358637bd                             // 0000000141B4: 7F5002FF 358637BD
	v_max3_f32 v168, |v120|, |v121|, v168                      // 0000000141BC: D1D303A8 06A2F378
	v_max3_f32 v168, |v122|, |v123|, v168                      // 0000000141C4: D1D303A8 06A2F77A
	v_max3_f32 v168, |v156|, |v157|, v168                      // 0000000141CC: D1D303A8 06A33B9C
	v_max3_f32 v168, |v158|, |v159|, v168                      // 0000000141D4: D1D303A8 06A33F9E
	ds_write_b32 v169, v168                                    // 0000000141DC: D81A0000 0000A8A9
	s_waitcnt lgkmcnt(0)                                       // 0000000141E4: BF8CC07F
	s_barrier                                                  // 0000000141E8: BF8A0000
	ds_read_b32 v4, v170                                       // 0000000141EC: D86C0000 040000AA
	ds_read_b32 v5, v170 offset:64                             // 0000000141F4: D86C0040 050000AA
	ds_read_b32 v6, v170 offset:128                            // 0000000141FC: D86C0080 060000AA
	ds_read_b32 v7, v170 offset:192                            // 000000014204: D86C00C0 070000AA
	ds_read_b32 v8, v170 offset:256                            // 00000001420C: D86C0100 080000AA
	ds_read_b32 v9, v170 offset:320                            // 000000014214: D86C0140 090000AA
	ds_read_b32 v10, v170 offset:384                           // 00000001421C: D86C0180 0A0000AA
	ds_read_b32 v11, v170 offset:448                           // 000000014224: D86C01C0 0B0000AA
	ds_read_b32 v12, v170 offset:512                           // 00000001422C: D86C0200 0C0000AA
	ds_read_b32 v13, v170 offset:576                           // 000000014234: D86C0240 0D0000AA
	ds_read_b32 v14, v170 offset:640                           // 00000001423C: D86C0280 0E0000AA
	ds_read_b32 v15, v170 offset:704                           // 000000014244: D86C02C0 0F0000AA
	ds_read_b32 v16, v170 offset:768                           // 00000001424C: D86C0300 100000AA
	ds_read_b32 v17, v170 offset:832                           // 000000014254: D86C0340 110000AA
	ds_read_b32 v18, v170 offset:896                           // 00000001425C: D86C0380 120000AA
	ds_read_b32 v19, v170 offset:960                           // 000000014264: D86C03C0 130000AA
	s_waitcnt lgkmcnt(0)                                       // 00000001426C: BF8CC07F
	s_barrier                                                  // 000000014270: BF8A0000
	v_max3_f32 v168, |v4|, |v5|, v168                          // 000000014274: D1D303A8 06A20B04
	v_max3_f32 v168, |v6|, |v7|, v168                          // 00000001427C: D1D303A8 06A20F06
	v_max3_f32 v168, |v8|, |v9|, v168                          // 000000014284: D1D303A8 06A21308
	v_max3_f32 v168, |v10|, |v11|, v168                        // 00000001428C: D1D303A8 06A2170A
	v_max3_f32 v168, |v12|, |v13|, v168                        // 000000014294: D1D303A8 06A21B0C
	v_max3_f32 v168, |v14|, |v15|, v168                        // 00000001429C: D1D303A8 06A21F0E
	v_max3_f32 v168, |v16|, |v17|, v168                        // 0000000142A4: D1D303A8 06A22310
	v_max3_f32 v168, |v18|, |v19|, v168                        // 0000000142AC: D1D303A8 06A22712
	v_rcp_f32_e32 v168, v168                                   // 0000000142B4: 7F5045A8
	v_mov_b32_e32 v4, 0x43700000                               // 0000000142B8: 7E0802FF 43700000
	v_mul_f32_e32 v168, v4, v168                               // 0000000142C0: 0B515104
	v_mov_b32_e32 v4, v168                                     // 0000000142C4: 7E0803A8
	v_mov_b32_e32 v5, v4                                       // 0000000142C8: 7E0A0304
	v_pk_mul_f32 v[120:121], v[4:5], v[120:121]                // 0000000142CC: D3B14078 1802F104
	v_pk_mul_f32 v[122:123], v[4:5], v[122:123]                // 0000000142D4: D3B1407A 1802F504
	v_cvt_pk_fp8_f32 v120, v120, v121                          // 0000000142DC: D2A20078 0002F378
	v_cvt_pk_fp8_f32 v120, v122, v123 op_sel:[0,0,1]           // 0000000142E4: D2A24078 0002F77A
	v_pk_mul_f32 v[156:157], v[4:5], v[156:157]                // 0000000142EC: D3B1409C 18033904
	v_pk_mul_f32 v[158:159], v[4:5], v[158:159]                // 0000000142F4: D3B1409E 18033D04
	v_cvt_pk_fp8_f32 v156, v156, v157                          // 0000000142FC: D2A2009C 00033B9C
	v_cvt_pk_fp8_f32 v156, v158, v159 op_sel:[0,0,1]           // 000000014304: D2A2409C 00033F9E
	v_rcp_f32_e32 v168, v168                                   // 00000001430C: 7F5045A8
	v_lshrrev_b32_e32 v4, 5, v0                                // 000000014310: 20080085
	v_mul_lo_u32 v20, 34, v4                                   // 000000014314: D2850014 000208A2
	v_and_b32_e32 v4, 31, v0                                   // 00000001431C: 2608009F
	v_lshrrev_b32_e32 v5, 4, v4                                // 000000014320: 200A0884
	v_add_u32_e32 v20, v5, v20                                 // 000000014324: 68282905
	v_and_b32_e32 v4, 15, v0                                   // 000000014328: 2608008F
	v_mul_lo_u32 v5, 2, v4                                     // 00000001432C: D2850005 00020882
	v_add_u32_e32 v20, v5, v20                                 // 000000014334: 68282905
	s_mul_i32 s60, s7, 0x44                                    // 000000014338: 923CFF07 00000044
	v_add_u32_e32 v20, s60, v20                                // 000000014340: 6828283C
	v_lshlrev_b32_e32 v20, 2, v20                              // 000000014344: 24282882
	ds_write_b32 v20, v88                                      // 000000014348: D81A0000 00005814
	ds_write_b32 v20, v92 offset:2176                          // 000000014350: D81A0880 00005C14
	ds_write_b32 v20, v96 offset:4352                          // 000000014358: D81A1100 00006014
	ds_write_b32 v20, v100 offset:6528                         // 000000014360: D81A1980 00006414
	ds_write_b32 v20, v104 offset:8704                         // 000000014368: D81A2200 00006814
	ds_write_b32 v20, v108 offset:10880                        // 000000014370: D81A2A80 00006C14
	ds_write_b32 v20, v112 offset:13056                        // 000000014378: D81A3300 00007014
	ds_write_b32 v20, v116 offset:15232                        // 000000014380: D81A3B80 00007414
	ds_write_b32 v20, v120 offset:17408                        // 000000014388: D81A4400 00007814
	ds_write_b32 v20, v124 offset:1088                         // 000000014390: D81A0440 00007C14
	ds_write_b32 v20, v128 offset:3264                         // 000000014398: D81A0CC0 00008014
	ds_write_b32 v20, v132 offset:5440                         // 0000000143A0: D81A1540 00008414
	ds_write_b32 v20, v136 offset:7616                         // 0000000143A8: D81A1DC0 00008814
	ds_write_b32 v20, v140 offset:9792                         // 0000000143B0: D81A2640 00008C14
	ds_write_b32 v20, v144 offset:11968                        // 0000000143B8: D81A2EC0 00009014
	ds_write_b32 v20, v148 offset:14144                        // 0000000143C0: D81A3740 00009414
	ds_write_b32 v20, v152 offset:16320                        // 0000000143C8: D81A3FC0 00009814
	ds_write_b32 v20, v156 offset:18496                        // 0000000143D0: D81A4840 00009C14
	v_lshrrev_b32_e32 v4, 5, v0                                // 0000000143D8: 20080085
	v_xor_b32_e32 v5, 1, v4                                    // 0000000143DC: 2A0A0881
	s_mul_i32 s60, s65, 1                                      // 0000000143E0: 923C8141
	s_cmp_eq_u32 s88, 0                                        // 0000000143E4: BF068058
	s_cselect_b32 s61, 1, 8                                    // 0000000143E8: 853D8881
	s_mul_i32 s60, s61, s60                                    // 0000000143EC: 923C3C3D
	v_readlane_b32 s82, v3, 0                                  // 0000000143F0: D2890052 00010103
	s_lshr_b32 s61, s82, 24                                    // 0000000143F8: 8F3D9852
	s_and_b32 s82, s82, 0xffffff                               // 0000000143FC: 8652FF52 00FFFFFF
	s_mul_i32 s82, s82, s71                                    // 000000014404: 92524752
	s_mul_i32 s61, s60, s61                                    // 000000014408: 923D3D3C
	s_add_u32 s82, s82, s61                                    // 00000001440C: 80523D52
	v_mul_lo_u32 v6, v5, s82                                   // 000000014410: D2850006 0000A505
	v_readlane_b32 s82, v3, 1                                  // 000000014418: D2890052 00010303
	s_lshr_b32 s61, s82, 24                                    // 000000014420: 8F3D9852
	s_and_b32 s82, s82, 0xffffff                               // 000000014424: 8652FF52 00FFFFFF
	s_mul_i32 s82, s82, s71                                    // 00000001442C: 92524752
	s_mul_i32 s61, s60, s61                                    // 000000014430: 923D3D3C
	s_add_u32 s82, s82, s61                                    // 000000014434: 80523D52
	v_mul_lo_u32 v7, v4, s82                                   // 000000014438: D2850007 0000A504
	v_add_u32_e32 v66, v6, v7                                  // 000000014440: 68840F06
	v_readlane_b32 s82, v3, 2                                  // 000000014444: D2890052 00010503
	s_lshr_b32 s61, s82, 24                                    // 00000001444C: 8F3D9852
	s_and_b32 s82, s82, 0xffffff                               // 000000014450: 8652FF52 00FFFFFF
	s_mul_i32 s82, s82, s71                                    // 000000014458: 92524752
	s_mul_i32 s61, s60, s61                                    // 00000001445C: 923D3D3C
	s_add_u32 s82, s82, s61                                    // 000000014460: 80523D52
	v_mul_lo_u32 v6, v5, s82                                   // 000000014464: D2850006 0000A505
	v_readlane_b32 s82, v3, 3                                  // 00000001446C: D2890052 00010703
	s_lshr_b32 s61, s82, 24                                    // 000000014474: 8F3D9852
	s_and_b32 s82, s82, 0xffffff                               // 000000014478: 8652FF52 00FFFFFF
	s_mul_i32 s82, s82, s71                                    // 000000014480: 92524752
	s_mul_i32 s61, s60, s61                                    // 000000014484: 923D3D3C
	s_add_u32 s82, s82, s61                                    // 000000014488: 80523D52
	v_mul_lo_u32 v7, v4, s82                                   // 00000001448C: D2850007 0000A504
	v_add_u32_e32 v67, v6, v7                                  // 000000014494: 68860F06
	v_readlane_b32 s82, v3, 4                                  // 000000014498: D2890052 00010903
	s_lshr_b32 s61, s82, 24                                    // 0000000144A0: 8F3D9852
	s_and_b32 s82, s82, 0xffffff                               // 0000000144A4: 8652FF52 00FFFFFF
	s_mul_i32 s82, s82, s71                                    // 0000000144AC: 92524752
	s_mul_i32 s61, s60, s61                                    // 0000000144B0: 923D3D3C
	s_add_u32 s82, s82, s61                                    // 0000000144B4: 80523D52
	v_mul_lo_u32 v6, v5, s82                                   // 0000000144B8: D2850006 0000A505
	v_readlane_b32 s82, v3, 5                                  // 0000000144C0: D2890052 00010B03
	s_lshr_b32 s61, s82, 24                                    // 0000000144C8: 8F3D9852
	s_and_b32 s82, s82, 0xffffff                               // 0000000144CC: 8652FF52 00FFFFFF
	s_mul_i32 s82, s82, s71                                    // 0000000144D4: 92524752
	s_mul_i32 s61, s60, s61                                    // 0000000144D8: 923D3D3C
	s_add_u32 s82, s82, s61                                    // 0000000144DC: 80523D52
	v_mul_lo_u32 v7, v4, s82                                   // 0000000144E0: D2850007 0000A504
	v_add_u32_e32 v68, v6, v7                                  // 0000000144E8: 68880F06
	v_readlane_b32 s82, v3, 6                                  // 0000000144EC: D2890052 00010D03
	s_lshr_b32 s61, s82, 24                                    // 0000000144F4: 8F3D9852
	s_and_b32 s82, s82, 0xffffff                               // 0000000144F8: 8652FF52 00FFFFFF
	s_mul_i32 s82, s82, s71                                    // 000000014500: 92524752
	s_mul_i32 s61, s60, s61                                    // 000000014504: 923D3D3C
	s_add_u32 s82, s82, s61                                    // 000000014508: 80523D52
	v_mul_lo_u32 v6, v5, s82                                   // 00000001450C: D2850006 0000A505
	v_readlane_b32 s82, v3, 7                                  // 000000014514: D2890052 00010F03
	s_lshr_b32 s61, s82, 24                                    // 00000001451C: 8F3D9852
	s_and_b32 s82, s82, 0xffffff                               // 000000014520: 8652FF52 00FFFFFF
	s_mul_i32 s82, s82, s71                                    // 000000014528: 92524752
	s_mul_i32 s61, s60, s61                                    // 00000001452C: 923D3D3C
	s_add_u32 s82, s82, s61                                    // 000000014530: 80523D52
	v_mul_lo_u32 v7, v4, s82                                   // 000000014534: D2850007 0000A504
	v_add_u32_e32 v69, v6, v7                                  // 00000001453C: 688A0F06
	v_readlane_b32 s82, v3, 8                                  // 000000014540: D2890052 00011103
	s_lshr_b32 s61, s82, 24                                    // 000000014548: 8F3D9852
	s_and_b32 s82, s82, 0xffffff                               // 00000001454C: 8652FF52 00FFFFFF
	s_mul_i32 s82, s82, s71                                    // 000000014554: 92524752
	s_mul_i32 s61, s60, s61                                    // 000000014558: 923D3D3C
	s_add_u32 s82, s82, s61                                    // 00000001455C: 80523D52
	v_mul_lo_u32 v6, v5, s82                                   // 000000014560: D2850006 0000A505
	v_readlane_b32 s82, v3, 9                                  // 000000014568: D2890052 00011303
	s_lshr_b32 s61, s82, 24                                    // 000000014570: 8F3D9852
	s_and_b32 s82, s82, 0xffffff                               // 000000014574: 8652FF52 00FFFFFF
	s_mul_i32 s82, s82, s71                                    // 00000001457C: 92524752
	s_mul_i32 s61, s60, s61                                    // 000000014580: 923D3D3C
	s_add_u32 s82, s82, s61                                    // 000000014584: 80523D52
	v_mul_lo_u32 v7, v4, s82                                   // 000000014588: D2850007 0000A504
	v_add_u32_e32 v70, v6, v7                                  // 000000014590: 688C0F06
	v_readlane_b32 s82, v3, 10                                 // 000000014594: D2890052 00011503
	s_lshr_b32 s61, s82, 24                                    // 00000001459C: 8F3D9852
	s_and_b32 s82, s82, 0xffffff                               // 0000000145A0: 8652FF52 00FFFFFF
	s_mul_i32 s82, s82, s71                                    // 0000000145A8: 92524752
	s_mul_i32 s61, s60, s61                                    // 0000000145AC: 923D3D3C
	s_add_u32 s82, s82, s61                                    // 0000000145B0: 80523D52
	v_mul_lo_u32 v6, v5, s82                                   // 0000000145B4: D2850006 0000A505
	v_readlane_b32 s82, v3, 11                                 // 0000000145BC: D2890052 00011703
	s_lshr_b32 s61, s82, 24                                    // 0000000145C4: 8F3D9852
	s_and_b32 s82, s82, 0xffffff                               // 0000000145C8: 8652FF52 00FFFFFF
	s_mul_i32 s82, s82, s71                                    // 0000000145D0: 92524752
	s_mul_i32 s61, s60, s61                                    // 0000000145D4: 923D3D3C
	s_add_u32 s82, s82, s61                                    // 0000000145D8: 80523D52
	v_mul_lo_u32 v7, v4, s82                                   // 0000000145DC: D2850007 0000A504
	v_add_u32_e32 v71, v6, v7                                  // 0000000145E4: 688E0F06
	v_readlane_b32 s82, v3, 12                                 // 0000000145E8: D2890052 00011903
	s_lshr_b32 s61, s82, 24                                    // 0000000145F0: 8F3D9852
	s_and_b32 s82, s82, 0xffffff                               // 0000000145F4: 8652FF52 00FFFFFF
	s_mul_i32 s82, s82, s71                                    // 0000000145FC: 92524752
	s_mul_i32 s61, s60, s61                                    // 000000014600: 923D3D3C
	s_add_u32 s82, s82, s61                                    // 000000014604: 80523D52
	v_mul_lo_u32 v6, v5, s82                                   // 000000014608: D2850006 0000A505
	v_readlane_b32 s82, v3, 13                                 // 000000014610: D2890052 00011B03
	s_lshr_b32 s61, s82, 24                                    // 000000014618: 8F3D9852
	s_and_b32 s82, s82, 0xffffff                               // 00000001461C: 8652FF52 00FFFFFF
	s_mul_i32 s82, s82, s71                                    // 000000014624: 92524752
	s_mul_i32 s61, s60, s61                                    // 000000014628: 923D3D3C
	s_add_u32 s82, s82, s61                                    // 00000001462C: 80523D52
	v_mul_lo_u32 v7, v4, s82                                   // 000000014630: D2850007 0000A504
	v_add_u32_e32 v72, v6, v7                                  // 000000014638: 68900F06
	v_readlane_b32 s82, v3, 14                                 // 00000001463C: D2890052 00011D03
	s_lshr_b32 s61, s82, 24                                    // 000000014644: 8F3D9852
	s_and_b32 s82, s82, 0xffffff                               // 000000014648: 8652FF52 00FFFFFF
	s_mul_i32 s82, s82, s71                                    // 000000014650: 92524752
	s_mul_i32 s61, s60, s61                                    // 000000014654: 923D3D3C
	s_add_u32 s82, s82, s61                                    // 000000014658: 80523D52
	v_mul_lo_u32 v6, v5, s82                                   // 00000001465C: D2850006 0000A505
	v_readlane_b32 s82, v3, 15                                 // 000000014664: D2890052 00011F03
	s_lshr_b32 s61, s82, 24                                    // 00000001466C: 8F3D9852
	s_and_b32 s82, s82, 0xffffff                               // 000000014670: 8652FF52 00FFFFFF
	s_mul_i32 s82, s82, s71                                    // 000000014678: 92524752
	s_mul_i32 s61, s60, s61                                    // 00000001467C: 923D3D3C
	s_add_u32 s82, s82, s61                                    // 000000014680: 80523D52
	v_mul_lo_u32 v7, v4, s82                                   // 000000014684: D2850007 0000A504
	v_add_u32_e32 v73, v6, v7                                  // 00000001468C: 68920F06
	v_readlane_b32 s82, v3, 16                                 // 000000014690: D2890052 00012103
	s_lshr_b32 s61, s82, 24                                    // 000000014698: 8F3D9852
	s_and_b32 s82, s82, 0xffffff                               // 00000001469C: 8652FF52 00FFFFFF
	s_mul_i32 s82, s82, s71                                    // 0000000146A4: 92524752
	s_mul_i32 s61, s60, s61                                    // 0000000146A8: 923D3D3C
	s_add_u32 s82, s82, s61                                    // 0000000146AC: 80523D52
	v_mul_lo_u32 v6, v5, s82                                   // 0000000146B0: D2850006 0000A505
	v_readlane_b32 s82, v3, 17                                 // 0000000146B8: D2890052 00012303
	s_lshr_b32 s61, s82, 24                                    // 0000000146C0: 8F3D9852
	s_and_b32 s82, s82, 0xffffff                               // 0000000146C4: 8652FF52 00FFFFFF
	s_mul_i32 s82, s82, s71                                    // 0000000146CC: 92524752
	s_mul_i32 s61, s60, s61                                    // 0000000146D0: 923D3D3C
	s_add_u32 s82, s82, s61                                    // 0000000146D4: 80523D52
	v_mul_lo_u32 v7, v4, s82                                   // 0000000146D8: D2850007 0000A504
	v_add_u32_e32 v74, v6, v7                                  // 0000000146E0: 68940F06
	v_readlane_b32 s82, v3, 18                                 // 0000000146E4: D2890052 00012503
	s_lshr_b32 s61, s82, 24                                    // 0000000146EC: 8F3D9852
	s_and_b32 s82, s82, 0xffffff                               // 0000000146F0: 8652FF52 00FFFFFF
	s_mul_i32 s82, s82, s71                                    // 0000000146F8: 92524752
	s_mul_i32 s61, s60, s61                                    // 0000000146FC: 923D3D3C
	s_add_u32 s82, s82, s61                                    // 000000014700: 80523D52
	v_mul_lo_u32 v6, v5, s82                                   // 000000014704: D2850006 0000A505
	v_readlane_b32 s82, v3, 19                                 // 00000001470C: D2890052 00012703
	s_lshr_b32 s61, s82, 24                                    // 000000014714: 8F3D9852
	s_and_b32 s82, s82, 0xffffff                               // 000000014718: 8652FF52 00FFFFFF
	s_mul_i32 s82, s82, s71                                    // 000000014720: 92524752
	s_mul_i32 s61, s60, s61                                    // 000000014724: 923D3D3C
	s_add_u32 s82, s82, s61                                    // 000000014728: 80523D52
	v_mul_lo_u32 v7, v4, s82                                   // 00000001472C: D2850007 0000A504
	v_add_u32_e32 v75, v6, v7                                  // 000000014734: 68960F06
	v_readlane_b32 s82, v3, 20                                 // 000000014738: D2890052 00012903
	s_lshr_b32 s61, s82, 24                                    // 000000014740: 8F3D9852
	s_and_b32 s82, s82, 0xffffff                               // 000000014744: 8652FF52 00FFFFFF
	s_mul_i32 s82, s82, s71                                    // 00000001474C: 92524752
	s_mul_i32 s61, s60, s61                                    // 000000014750: 923D3D3C
	s_add_u32 s82, s82, s61                                    // 000000014754: 80523D52
	v_mul_lo_u32 v6, v5, s82                                   // 000000014758: D2850006 0000A505
	v_readlane_b32 s82, v3, 21                                 // 000000014760: D2890052 00012B03
	s_lshr_b32 s61, s82, 24                                    // 000000014768: 8F3D9852
	s_and_b32 s82, s82, 0xffffff                               // 00000001476C: 8652FF52 00FFFFFF
	s_mul_i32 s82, s82, s71                                    // 000000014774: 92524752
	s_mul_i32 s61, s60, s61                                    // 000000014778: 923D3D3C
	s_add_u32 s82, s82, s61                                    // 00000001477C: 80523D52
	v_mul_lo_u32 v7, v4, s82                                   // 000000014780: D2850007 0000A504
	v_add_u32_e32 v76, v6, v7                                  // 000000014788: 68980F06
	v_readlane_b32 s82, v3, 22                                 // 00000001478C: D2890052 00012D03
	s_lshr_b32 s61, s82, 24                                    // 000000014794: 8F3D9852
	s_and_b32 s82, s82, 0xffffff                               // 000000014798: 8652FF52 00FFFFFF
	s_mul_i32 s82, s82, s71                                    // 0000000147A0: 92524752
	s_mul_i32 s61, s60, s61                                    // 0000000147A4: 923D3D3C
	s_add_u32 s82, s82, s61                                    // 0000000147A8: 80523D52
	v_mul_lo_u32 v6, v5, s82                                   // 0000000147AC: D2850006 0000A505
	v_readlane_b32 s82, v3, 23                                 // 0000000147B4: D2890052 00012F03
	s_lshr_b32 s61, s82, 24                                    // 0000000147BC: 8F3D9852
	s_and_b32 s82, s82, 0xffffff                               // 0000000147C0: 8652FF52 00FFFFFF
	s_mul_i32 s82, s82, s71                                    // 0000000147C8: 92524752
	s_mul_i32 s61, s60, s61                                    // 0000000147CC: 923D3D3C
	s_add_u32 s82, s82, s61                                    // 0000000147D0: 80523D52
	v_mul_lo_u32 v7, v4, s82                                   // 0000000147D4: D2850007 0000A504
	v_add_u32_e32 v77, v6, v7                                  // 0000000147DC: 689A0F06
	v_readlane_b32 s82, v3, 24                                 // 0000000147E0: D2890052 00013103
	s_lshr_b32 s61, s82, 24                                    // 0000000147E8: 8F3D9852
	s_and_b32 s82, s82, 0xffffff                               // 0000000147EC: 8652FF52 00FFFFFF
	s_mul_i32 s82, s82, s71                                    // 0000000147F4: 92524752
	s_mul_i32 s61, s60, s61                                    // 0000000147F8: 923D3D3C
	s_add_u32 s82, s82, s61                                    // 0000000147FC: 80523D52
	v_mul_lo_u32 v6, v5, s82                                   // 000000014800: D2850006 0000A505
	v_readlane_b32 s82, v3, 25                                 // 000000014808: D2890052 00013303
	s_lshr_b32 s61, s82, 24                                    // 000000014810: 8F3D9852
	s_and_b32 s82, s82, 0xffffff                               // 000000014814: 8652FF52 00FFFFFF
	s_mul_i32 s82, s82, s71                                    // 00000001481C: 92524752
	s_mul_i32 s61, s60, s61                                    // 000000014820: 923D3D3C
	s_add_u32 s82, s82, s61                                    // 000000014824: 80523D52
	v_mul_lo_u32 v7, v4, s82                                   // 000000014828: D2850007 0000A504
	v_add_u32_e32 v78, v6, v7                                  // 000000014830: 689C0F06
	v_readlane_b32 s82, v3, 26                                 // 000000014834: D2890052 00013503
	s_lshr_b32 s61, s82, 24                                    // 00000001483C: 8F3D9852
	s_and_b32 s82, s82, 0xffffff                               // 000000014840: 8652FF52 00FFFFFF
	s_mul_i32 s82, s82, s71                                    // 000000014848: 92524752
	s_mul_i32 s61, s60, s61                                    // 00000001484C: 923D3D3C
	s_add_u32 s82, s82, s61                                    // 000000014850: 80523D52
	v_mul_lo_u32 v6, v5, s82                                   // 000000014854: D2850006 0000A505
	v_readlane_b32 s82, v3, 27                                 // 00000001485C: D2890052 00013703
	s_lshr_b32 s61, s82, 24                                    // 000000014864: 8F3D9852
	s_and_b32 s82, s82, 0xffffff                               // 000000014868: 8652FF52 00FFFFFF
	s_mul_i32 s82, s82, s71                                    // 000000014870: 92524752
	s_mul_i32 s61, s60, s61                                    // 000000014874: 923D3D3C
	s_add_u32 s82, s82, s61                                    // 000000014878: 80523D52
	v_mul_lo_u32 v7, v4, s82                                   // 00000001487C: D2850007 0000A504
	v_add_u32_e32 v79, v6, v7                                  // 000000014884: 689E0F06
	v_readlane_b32 s82, v3, 28                                 // 000000014888: D2890052 00013903
	s_lshr_b32 s61, s82, 24                                    // 000000014890: 8F3D9852
	s_and_b32 s82, s82, 0xffffff                               // 000000014894: 8652FF52 00FFFFFF
	s_mul_i32 s82, s82, s71                                    // 00000001489C: 92524752
	s_mul_i32 s61, s60, s61                                    // 0000000148A0: 923D3D3C
	s_add_u32 s82, s82, s61                                    // 0000000148A4: 80523D52
	v_mul_lo_u32 v6, v5, s82                                   // 0000000148A8: D2850006 0000A505
	v_readlane_b32 s82, v3, 29                                 // 0000000148B0: D2890052 00013B03
	s_lshr_b32 s61, s82, 24                                    // 0000000148B8: 8F3D9852
	s_and_b32 s82, s82, 0xffffff                               // 0000000148BC: 8652FF52 00FFFFFF
	s_mul_i32 s82, s82, s71                                    // 0000000148C4: 92524752
	s_mul_i32 s61, s60, s61                                    // 0000000148C8: 923D3D3C
	s_add_u32 s82, s82, s61                                    // 0000000148CC: 80523D52
	v_mul_lo_u32 v7, v4, s82                                   // 0000000148D0: D2850007 0000A504
	v_add_u32_e32 v80, v6, v7                                  // 0000000148D8: 68A00F06
	v_readlane_b32 s82, v3, 30                                 // 0000000148DC: D2890052 00013D03
	s_lshr_b32 s61, s82, 24                                    // 0000000148E4: 8F3D9852
	s_and_b32 s82, s82, 0xffffff                               // 0000000148E8: 8652FF52 00FFFFFF
	s_mul_i32 s82, s82, s71                                    // 0000000148F0: 92524752
	s_mul_i32 s61, s60, s61                                    // 0000000148F4: 923D3D3C
	s_add_u32 s82, s82, s61                                    // 0000000148F8: 80523D52
	v_mul_lo_u32 v6, v5, s82                                   // 0000000148FC: D2850006 0000A505
	v_readlane_b32 s82, v3, 31                                 // 000000014904: D2890052 00013F03
	s_lshr_b32 s61, s82, 24                                    // 00000001490C: 8F3D9852
	s_and_b32 s82, s82, 0xffffff                               // 000000014910: 8652FF52 00FFFFFF
	s_mul_i32 s82, s82, s71                                    // 000000014918: 92524752
	s_mul_i32 s61, s60, s61                                    // 00000001491C: 923D3D3C
	s_add_u32 s82, s82, s61                                    // 000000014920: 80523D52
	v_mul_lo_u32 v7, v4, s82                                   // 000000014924: D2850007 0000A504
	v_add_u32_e32 v81, v6, v7                                  // 00000001492C: 68A20F06
	v_readlane_b32 s82, v3, 32                                 // 000000014930: D2890052 00014103
	s_lshr_b32 s61, s82, 24                                    // 000000014938: 8F3D9852
	s_and_b32 s82, s82, 0xffffff                               // 00000001493C: 8652FF52 00FFFFFF
	s_mul_i32 s82, s82, s71                                    // 000000014944: 92524752
	s_mul_i32 s61, s60, s61                                    // 000000014948: 923D3D3C
	s_add_u32 s82, s82, s61                                    // 00000001494C: 80523D52
	v_mul_lo_u32 v6, v5, s82                                   // 000000014950: D2850006 0000A505
	v_readlane_b32 s82, v3, 33                                 // 000000014958: D2890052 00014303
	s_lshr_b32 s61, s82, 24                                    // 000000014960: 8F3D9852
	s_and_b32 s82, s82, 0xffffff                               // 000000014964: 8652FF52 00FFFFFF
	s_mul_i32 s82, s82, s71                                    // 00000001496C: 92524752
	s_mul_i32 s61, s60, s61                                    // 000000014970: 923D3D3C
	s_add_u32 s82, s82, s61                                    // 000000014974: 80523D52
	v_mul_lo_u32 v7, v4, s82                                   // 000000014978: D2850007 0000A504
	v_add_u32_e32 v82, v6, v7                                  // 000000014980: 68A40F06
	v_readlane_b32 s82, v3, 34                                 // 000000014984: D2890052 00014503
	s_lshr_b32 s61, s82, 24                                    // 00000001498C: 8F3D9852
	s_and_b32 s82, s82, 0xffffff                               // 000000014990: 8652FF52 00FFFFFF
	s_mul_i32 s82, s82, s71                                    // 000000014998: 92524752
	s_mul_i32 s61, s60, s61                                    // 00000001499C: 923D3D3C
	s_add_u32 s82, s82, s61                                    // 0000000149A0: 80523D52
	v_mul_lo_u32 v6, v5, s82                                   // 0000000149A4: D2850006 0000A505
	v_readlane_b32 s82, v3, 35                                 // 0000000149AC: D2890052 00014703
	s_lshr_b32 s61, s82, 24                                    // 0000000149B4: 8F3D9852
	s_and_b32 s82, s82, 0xffffff                               // 0000000149B8: 8652FF52 00FFFFFF
	s_mul_i32 s82, s82, s71                                    // 0000000149C0: 92524752
	s_mul_i32 s61, s60, s61                                    // 0000000149C4: 923D3D3C
	s_add_u32 s82, s82, s61                                    // 0000000149C8: 80523D52
	v_mul_lo_u32 v7, v4, s82                                   // 0000000149CC: D2850007 0000A504
	v_add_u32_e32 v83, v6, v7                                  // 0000000149D4: 68A60F06
	v_and_b32_e32 v4, 31, v0                                   // 0000000149D8: 2608009F
	v_lshrrev_b32_e32 v4, 1, v4                                // 0000000149DC: 20080881
	s_cmp_eq_u32 s88, 0                                        // 0000000149E0: BF068058
	s_cselect_b32 s61, 2, 4                                    // 0000000149E4: 853D8482
	v_mul_lo_u32 v4, v4, s61                                   // 0000000149E8: D2850004 00007B04
	v_and_b32_e64 v5, v0, 1                                    // 0000000149F0: D1130005 00010300
	v_add_u32_e32 v4, v4, v5                                   // 0000000149F8: 68080B04
	v_lshlrev_b32_e32 v4, 2, v4                                // 0000000149FC: 24080882
	v_add_u32_e32 v66, v66, v4                                 // 000000014A00: 68840942
	v_add_u32_e32 v67, v67, v4                                 // 000000014A04: 68860943
	v_add_u32_e32 v68, v68, v4                                 // 000000014A08: 68880944
	v_add_u32_e32 v69, v69, v4                                 // 000000014A0C: 688A0945
	v_add_u32_e32 v70, v70, v4                                 // 000000014A10: 688C0946
	v_add_u32_e32 v71, v71, v4                                 // 000000014A14: 688E0947
	v_add_u32_e32 v72, v72, v4                                 // 000000014A18: 68900948
	v_add_u32_e32 v73, v73, v4                                 // 000000014A1C: 68920949
	v_add_u32_e32 v74, v74, v4                                 // 000000014A20: 6894094A
	v_add_u32_e32 v75, v75, v4                                 // 000000014A24: 6896094B
	v_add_u32_e32 v76, v76, v4                                 // 000000014A28: 6898094C
	v_add_u32_e32 v77, v77, v4                                 // 000000014A2C: 689A094D
	v_add_u32_e32 v78, v78, v4                                 // 000000014A30: 689C094E
	v_add_u32_e32 v79, v79, v4                                 // 000000014A34: 689E094F
	v_add_u32_e32 v80, v80, v4                                 // 000000014A38: 68A00950
	v_add_u32_e32 v81, v81, v4                                 // 000000014A3C: 68A20951
	v_add_u32_e32 v82, v82, v4                                 // 000000014A40: 68A40952
	v_add_u32_e32 v83, v83, v4                                 // 000000014A44: 68A60953
	s_waitcnt lgkmcnt(0)                                       // 000000014A48: BF8CC07F
	s_barrier                                                  // 000000014A4C: BF8A0000
	ds_read_b32 v88, v21                                       // 000000014A50: D86C0000 58000015
	ds_read_b32 v89, v21 offset:64                             // 000000014A58: D86C0040 59000015
	ds_read_b32 v90, v21 offset:2176                           // 000000014A60: D86C0880 5A000015
	ds_read_b32 v91, v21 offset:2240                           // 000000014A68: D86C08C0 5B000015
	ds_read_b32 v92, v21 offset:4352                           // 000000014A70: D86C1100 5C000015
	ds_read_b32 v93, v21 offset:4416                           // 000000014A78: D86C1140 5D000015
	ds_read_b32 v94, v21 offset:6528                           // 000000014A80: D86C1980 5E000015
	ds_read_b32 v95, v21 offset:6592                           // 000000014A88: D86C19C0 5F000015
	ds_read_b32 v96, v21 offset:8704                           // 000000014A90: D86C2200 60000015
	ds_read_b32 v97, v21 offset:8768                           // 000000014A98: D86C2240 61000015
	ds_read_b32 v98, v21 offset:10880                          // 000000014AA0: D86C2A80 62000015
	ds_read_b32 v99, v21 offset:10944                          // 000000014AA8: D86C2AC0 63000015
	ds_read_b32 v100, v21 offset:13056                         // 000000014AB0: D86C3300 64000015
	ds_read_b32 v101, v21 offset:13120                         // 000000014AB8: D86C3340 65000015
	ds_read_b32 v102, v21 offset:15232                         // 000000014AC0: D86C3B80 66000015
	ds_read_b32 v103, v21 offset:15296                         // 000000014AC8: D86C3BC0 67000015
	ds_read_b32 v104, v21 offset:17408                         // 000000014AD0: D86C4400 68000015
	ds_read_b32 v105, v21 offset:17472                         // 000000014AD8: D86C4440 69000015
	s_waitcnt lgkmcnt(0)                                       // 000000014AE0: BF8CC07F
	s_mov_b32 s36, -1                                          // 000000014AE4: BEA400C1
	s_mov_b32 s37, -1                                          // 000000014AE8: BEA500C1
	v_mov_b32_e32 v7, 0                                        // 000000014AEC: 7E0E0280
	s_or_b32 s9, s9, 0x40000                                   // 000000014AF0: 8709FF09 00040000
	s_mov_b64 exec, s[36:37]                                   // 000000014AF8: BEFE0124
	v_mov_b32_e32 v6, v66                                      // 000000014AFC: 7E0C0342
	s_mov_b64 s[60:61], 0                                      // 000000014B00: BEBC0180
	v_readlane_b32 s82, v3, 0                                  // 000000014B04: D2890052 00010103
	s_and_b32 s82, s82, 0xffffff                               // 000000014B0C: 8652FF52 00FFFFFF
	s_cmp_lt_u32 s82, s66                                      // 000000014B14: BF0A4252
	s_cselect_b32 s20, s36, s60                                // 000000014B18: 85143C24
	v_readlane_b32 s82, v3, 1                                  // 000000014B1C: D2890052 00010303
	s_and_b32 s82, s82, 0xffffff                               // 000000014B24: 8652FF52 00FFFFFF
	s_cmp_lt_u32 s82, s66                                      // 000000014B2C: BF0A4252
	s_cselect_b32 s21, s36, s60                                // 000000014B30: 85153C24
	s_mov_b64 exec, s[20:21]                                   // 000000014B34: BEFE0114
	buffer_store_dword v88, v6, s[8:11], 0 offen               // 000000014B38: E0701000 80025806
	s_mov_b64 exec, s[36:37]                                   // 000000014B40: BEFE0124
	v_mov_b32_e32 v6, v67                                      // 000000014B44: 7E0C0343
	s_mov_b64 s[60:61], 0                                      // 000000014B48: BEBC0180
	v_readlane_b32 s82, v3, 2                                  // 000000014B4C: D2890052 00010503
	s_and_b32 s82, s82, 0xffffff                               // 000000014B54: 8652FF52 00FFFFFF
	s_cmp_lt_u32 s82, s66                                      // 000000014B5C: BF0A4252
	s_cselect_b32 s20, s36, s60                                // 000000014B60: 85143C24
	v_readlane_b32 s82, v3, 3                                  // 000000014B64: D2890052 00010703
	s_and_b32 s82, s82, 0xffffff                               // 000000014B6C: 8652FF52 00FFFFFF
	s_cmp_lt_u32 s82, s66                                      // 000000014B74: BF0A4252
	s_cselect_b32 s21, s36, s60                                // 000000014B78: 85153C24
	s_mov_b64 exec, s[20:21]                                   // 000000014B7C: BEFE0114
	buffer_store_dword v89, v6, s[8:11], 0 offen               // 000000014B80: E0701000 80025906
	s_mov_b64 exec, s[36:37]                                   // 000000014B88: BEFE0124
	v_mov_b32_e32 v6, v68                                      // 000000014B8C: 7E0C0344
	s_mov_b64 s[60:61], 0                                      // 000000014B90: BEBC0180
	v_readlane_b32 s82, v3, 4                                  // 000000014B94: D2890052 00010903
	s_and_b32 s82, s82, 0xffffff                               // 000000014B9C: 8652FF52 00FFFFFF
	s_cmp_lt_u32 s82, s66                                      // 000000014BA4: BF0A4252
	s_cselect_b32 s20, s36, s60                                // 000000014BA8: 85143C24
	v_readlane_b32 s82, v3, 5                                  // 000000014BAC: D2890052 00010B03
	s_and_b32 s82, s82, 0xffffff                               // 000000014BB4: 8652FF52 00FFFFFF
	s_cmp_lt_u32 s82, s66                                      // 000000014BBC: BF0A4252
	s_cselect_b32 s21, s36, s60                                // 000000014BC0: 85153C24
	s_mov_b64 exec, s[20:21]                                   // 000000014BC4: BEFE0114
	buffer_store_dword v90, v6, s[8:11], 0 offen               // 000000014BC8: E0701000 80025A06
	s_mov_b64 exec, s[36:37]                                   // 000000014BD0: BEFE0124
	v_mov_b32_e32 v6, v69                                      // 000000014BD4: 7E0C0345
	s_mov_b64 s[60:61], 0                                      // 000000014BD8: BEBC0180
	v_readlane_b32 s82, v3, 6                                  // 000000014BDC: D2890052 00010D03
	s_and_b32 s82, s82, 0xffffff                               // 000000014BE4: 8652FF52 00FFFFFF
	s_cmp_lt_u32 s82, s66                                      // 000000014BEC: BF0A4252
	s_cselect_b32 s20, s36, s60                                // 000000014BF0: 85143C24
	v_readlane_b32 s82, v3, 7                                  // 000000014BF4: D2890052 00010F03
	s_and_b32 s82, s82, 0xffffff                               // 000000014BFC: 8652FF52 00FFFFFF
	s_cmp_lt_u32 s82, s66                                      // 000000014C04: BF0A4252
	s_cselect_b32 s21, s36, s60                                // 000000014C08: 85153C24
	s_mov_b64 exec, s[20:21]                                   // 000000014C0C: BEFE0114
	buffer_store_dword v91, v6, s[8:11], 0 offen               // 000000014C10: E0701000 80025B06
	s_mov_b64 exec, s[36:37]                                   // 000000014C18: BEFE0124
	v_mov_b32_e32 v6, v70                                      // 000000014C1C: 7E0C0346
	s_mov_b64 s[60:61], 0                                      // 000000014C20: BEBC0180
	v_readlane_b32 s82, v3, 8                                  // 000000014C24: D2890052 00011103
	s_and_b32 s82, s82, 0xffffff                               // 000000014C2C: 8652FF52 00FFFFFF
	s_cmp_lt_u32 s82, s66                                      // 000000014C34: BF0A4252
	s_cselect_b32 s20, s36, s60                                // 000000014C38: 85143C24
	v_readlane_b32 s82, v3, 9                                  // 000000014C3C: D2890052 00011303
	s_and_b32 s82, s82, 0xffffff                               // 000000014C44: 8652FF52 00FFFFFF
	s_cmp_lt_u32 s82, s66                                      // 000000014C4C: BF0A4252
	s_cselect_b32 s21, s36, s60                                // 000000014C50: 85153C24
	s_mov_b64 exec, s[20:21]                                   // 000000014C54: BEFE0114
	buffer_store_dword v92, v6, s[8:11], 0 offen               // 000000014C58: E0701000 80025C06
	s_mov_b64 exec, s[36:37]                                   // 000000014C60: BEFE0124
	v_mov_b32_e32 v6, v71                                      // 000000014C64: 7E0C0347
	s_mov_b64 s[60:61], 0                                      // 000000014C68: BEBC0180
	v_readlane_b32 s82, v3, 10                                 // 000000014C6C: D2890052 00011503
	s_and_b32 s82, s82, 0xffffff                               // 000000014C74: 8652FF52 00FFFFFF
	s_cmp_lt_u32 s82, s66                                      // 000000014C7C: BF0A4252
	s_cselect_b32 s20, s36, s60                                // 000000014C80: 85143C24
	v_readlane_b32 s82, v3, 11                                 // 000000014C84: D2890052 00011703
	s_and_b32 s82, s82, 0xffffff                               // 000000014C8C: 8652FF52 00FFFFFF
	s_cmp_lt_u32 s82, s66                                      // 000000014C94: BF0A4252
	s_cselect_b32 s21, s36, s60                                // 000000014C98: 85153C24
	s_mov_b64 exec, s[20:21]                                   // 000000014C9C: BEFE0114
	buffer_store_dword v93, v6, s[8:11], 0 offen               // 000000014CA0: E0701000 80025D06
	s_mov_b64 exec, s[36:37]                                   // 000000014CA8: BEFE0124
	v_mov_b32_e32 v6, v72                                      // 000000014CAC: 7E0C0348
	s_mov_b64 s[60:61], 0                                      // 000000014CB0: BEBC0180
	v_readlane_b32 s82, v3, 12                                 // 000000014CB4: D2890052 00011903
	s_and_b32 s82, s82, 0xffffff                               // 000000014CBC: 8652FF52 00FFFFFF
	s_cmp_lt_u32 s82, s66                                      // 000000014CC4: BF0A4252
	s_cselect_b32 s20, s36, s60                                // 000000014CC8: 85143C24
	v_readlane_b32 s82, v3, 13                                 // 000000014CCC: D2890052 00011B03
	s_and_b32 s82, s82, 0xffffff                               // 000000014CD4: 8652FF52 00FFFFFF
	s_cmp_lt_u32 s82, s66                                      // 000000014CDC: BF0A4252
	s_cselect_b32 s21, s36, s60                                // 000000014CE0: 85153C24
	s_mov_b64 exec, s[20:21]                                   // 000000014CE4: BEFE0114
	buffer_store_dword v94, v6, s[8:11], 0 offen               // 000000014CE8: E0701000 80025E06
	s_mov_b64 exec, s[36:37]                                   // 000000014CF0: BEFE0124
	v_mov_b32_e32 v6, v73                                      // 000000014CF4: 7E0C0349
	s_mov_b64 s[60:61], 0                                      // 000000014CF8: BEBC0180
	v_readlane_b32 s82, v3, 14                                 // 000000014CFC: D2890052 00011D03
	s_and_b32 s82, s82, 0xffffff                               // 000000014D04: 8652FF52 00FFFFFF
	s_cmp_lt_u32 s82, s66                                      // 000000014D0C: BF0A4252
	s_cselect_b32 s20, s36, s60                                // 000000014D10: 85143C24
	v_readlane_b32 s82, v3, 15                                 // 000000014D14: D2890052 00011F03
	s_and_b32 s82, s82, 0xffffff                               // 000000014D1C: 8652FF52 00FFFFFF
	s_cmp_lt_u32 s82, s66                                      // 000000014D24: BF0A4252
	s_cselect_b32 s21, s36, s60                                // 000000014D28: 85153C24
	s_mov_b64 exec, s[20:21]                                   // 000000014D2C: BEFE0114
	buffer_store_dword v95, v6, s[8:11], 0 offen               // 000000014D30: E0701000 80025F06
	s_mov_b64 exec, s[36:37]                                   // 000000014D38: BEFE0124
	v_mov_b32_e32 v6, v74                                      // 000000014D3C: 7E0C034A
	s_mov_b64 s[60:61], 0                                      // 000000014D40: BEBC0180
	v_readlane_b32 s82, v3, 16                                 // 000000014D44: D2890052 00012103
	s_and_b32 s82, s82, 0xffffff                               // 000000014D4C: 8652FF52 00FFFFFF
	s_cmp_lt_u32 s82, s66                                      // 000000014D54: BF0A4252
	s_cselect_b32 s20, s36, s60                                // 000000014D58: 85143C24
	v_readlane_b32 s82, v3, 17                                 // 000000014D5C: D2890052 00012303
	s_and_b32 s82, s82, 0xffffff                               // 000000014D64: 8652FF52 00FFFFFF
	s_cmp_lt_u32 s82, s66                                      // 000000014D6C: BF0A4252
	s_cselect_b32 s21, s36, s60                                // 000000014D70: 85153C24
	s_mov_b64 exec, s[20:21]                                   // 000000014D74: BEFE0114
	buffer_store_dword v96, v6, s[8:11], 0 offen               // 000000014D78: E0701000 80026006
	s_mov_b64 exec, s[36:37]                                   // 000000014D80: BEFE0124
	v_mov_b32_e32 v6, v75                                      // 000000014D84: 7E0C034B
	s_mov_b64 s[60:61], 0                                      // 000000014D88: BEBC0180
	v_readlane_b32 s82, v3, 18                                 // 000000014D8C: D2890052 00012503
	s_and_b32 s82, s82, 0xffffff                               // 000000014D94: 8652FF52 00FFFFFF
	s_cmp_lt_u32 s82, s66                                      // 000000014D9C: BF0A4252
	s_cselect_b32 s20, s36, s60                                // 000000014DA0: 85143C24
	v_readlane_b32 s82, v3, 19                                 // 000000014DA4: D2890052 00012703
	s_and_b32 s82, s82, 0xffffff                               // 000000014DAC: 8652FF52 00FFFFFF
	s_cmp_lt_u32 s82, s66                                      // 000000014DB4: BF0A4252
	s_cselect_b32 s21, s36, s60                                // 000000014DB8: 85153C24
	s_mov_b64 exec, s[20:21]                                   // 000000014DBC: BEFE0114
	buffer_store_dword v97, v6, s[8:11], 0 offen               // 000000014DC0: E0701000 80026106
	s_mov_b64 exec, s[36:37]                                   // 000000014DC8: BEFE0124
	v_mov_b32_e32 v6, v76                                      // 000000014DCC: 7E0C034C
	s_mov_b64 s[60:61], 0                                      // 000000014DD0: BEBC0180
	v_readlane_b32 s82, v3, 20                                 // 000000014DD4: D2890052 00012903
	s_and_b32 s82, s82, 0xffffff                               // 000000014DDC: 8652FF52 00FFFFFF
	s_cmp_lt_u32 s82, s66                                      // 000000014DE4: BF0A4252
	s_cselect_b32 s20, s36, s60                                // 000000014DE8: 85143C24
	v_readlane_b32 s82, v3, 21                                 // 000000014DEC: D2890052 00012B03
	s_and_b32 s82, s82, 0xffffff                               // 000000014DF4: 8652FF52 00FFFFFF
	s_cmp_lt_u32 s82, s66                                      // 000000014DFC: BF0A4252
	s_cselect_b32 s21, s36, s60                                // 000000014E00: 85153C24
	s_mov_b64 exec, s[20:21]                                   // 000000014E04: BEFE0114
	buffer_store_dword v98, v6, s[8:11], 0 offen               // 000000014E08: E0701000 80026206
	s_mov_b64 exec, s[36:37]                                   // 000000014E10: BEFE0124
	v_mov_b32_e32 v6, v77                                      // 000000014E14: 7E0C034D
	s_mov_b64 s[60:61], 0                                      // 000000014E18: BEBC0180
	v_readlane_b32 s82, v3, 22                                 // 000000014E1C: D2890052 00012D03
	s_and_b32 s82, s82, 0xffffff                               // 000000014E24: 8652FF52 00FFFFFF
	s_cmp_lt_u32 s82, s66                                      // 000000014E2C: BF0A4252
	s_cselect_b32 s20, s36, s60                                // 000000014E30: 85143C24
	v_readlane_b32 s82, v3, 23                                 // 000000014E34: D2890052 00012F03
	s_and_b32 s82, s82, 0xffffff                               // 000000014E3C: 8652FF52 00FFFFFF
	s_cmp_lt_u32 s82, s66                                      // 000000014E44: BF0A4252
	s_cselect_b32 s21, s36, s60                                // 000000014E48: 85153C24
	s_mov_b64 exec, s[20:21]                                   // 000000014E4C: BEFE0114
	buffer_store_dword v99, v6, s[8:11], 0 offen               // 000000014E50: E0701000 80026306
	s_mov_b64 exec, s[36:37]                                   // 000000014E58: BEFE0124
	v_mov_b32_e32 v6, v78                                      // 000000014E5C: 7E0C034E
	s_mov_b64 s[60:61], 0                                      // 000000014E60: BEBC0180
	v_readlane_b32 s82, v3, 24                                 // 000000014E64: D2890052 00013103
	s_and_b32 s82, s82, 0xffffff                               // 000000014E6C: 8652FF52 00FFFFFF
	s_cmp_lt_u32 s82, s66                                      // 000000014E74: BF0A4252
	s_cselect_b32 s20, s36, s60                                // 000000014E78: 85143C24
	v_readlane_b32 s82, v3, 25                                 // 000000014E7C: D2890052 00013303
	s_and_b32 s82, s82, 0xffffff                               // 000000014E84: 8652FF52 00FFFFFF
	s_cmp_lt_u32 s82, s66                                      // 000000014E8C: BF0A4252
	s_cselect_b32 s21, s36, s60                                // 000000014E90: 85153C24
	s_mov_b64 exec, s[20:21]                                   // 000000014E94: BEFE0114
	buffer_store_dword v100, v6, s[8:11], 0 offen              // 000000014E98: E0701000 80026406
	s_mov_b64 exec, s[36:37]                                   // 000000014EA0: BEFE0124
	v_mov_b32_e32 v6, v79                                      // 000000014EA4: 7E0C034F
	s_mov_b64 s[60:61], 0                                      // 000000014EA8: BEBC0180
	v_readlane_b32 s82, v3, 26                                 // 000000014EAC: D2890052 00013503
	s_and_b32 s82, s82, 0xffffff                               // 000000014EB4: 8652FF52 00FFFFFF
	s_cmp_lt_u32 s82, s66                                      // 000000014EBC: BF0A4252
	s_cselect_b32 s20, s36, s60                                // 000000014EC0: 85143C24
	v_readlane_b32 s82, v3, 27                                 // 000000014EC4: D2890052 00013703
	s_and_b32 s82, s82, 0xffffff                               // 000000014ECC: 8652FF52 00FFFFFF
	s_cmp_lt_u32 s82, s66                                      // 000000014ED4: BF0A4252
	s_cselect_b32 s21, s36, s60                                // 000000014ED8: 85153C24
	s_mov_b64 exec, s[20:21]                                   // 000000014EDC: BEFE0114
	buffer_store_dword v101, v6, s[8:11], 0 offen              // 000000014EE0: E0701000 80026506
	s_mov_b64 exec, s[36:37]                                   // 000000014EE8: BEFE0124
	v_mov_b32_e32 v6, v80                                      // 000000014EEC: 7E0C0350
	s_mov_b64 s[60:61], 0                                      // 000000014EF0: BEBC0180
	v_readlane_b32 s82, v3, 28                                 // 000000014EF4: D2890052 00013903
	s_and_b32 s82, s82, 0xffffff                               // 000000014EFC: 8652FF52 00FFFFFF
	s_cmp_lt_u32 s82, s66                                      // 000000014F04: BF0A4252
	s_cselect_b32 s20, s36, s60                                // 000000014F08: 85143C24
	v_readlane_b32 s82, v3, 29                                 // 000000014F0C: D2890052 00013B03
	s_and_b32 s82, s82, 0xffffff                               // 000000014F14: 8652FF52 00FFFFFF
	s_cmp_lt_u32 s82, s66                                      // 000000014F1C: BF0A4252
	s_cselect_b32 s21, s36, s60                                // 000000014F20: 85153C24
	s_mov_b64 exec, s[20:21]                                   // 000000014F24: BEFE0114
	buffer_store_dword v102, v6, s[8:11], 0 offen              // 000000014F28: E0701000 80026606
	s_mov_b64 exec, s[36:37]                                   // 000000014F30: BEFE0124
	v_mov_b32_e32 v6, v81                                      // 000000014F34: 7E0C0351
	s_mov_b64 s[60:61], 0                                      // 000000014F38: BEBC0180
	v_readlane_b32 s82, v3, 30                                 // 000000014F3C: D2890052 00013D03
	s_and_b32 s82, s82, 0xffffff                               // 000000014F44: 8652FF52 00FFFFFF
	s_cmp_lt_u32 s82, s66                                      // 000000014F4C: BF0A4252
	s_cselect_b32 s20, s36, s60                                // 000000014F50: 85143C24
	v_readlane_b32 s82, v3, 31                                 // 000000014F54: D2890052 00013F03
	s_and_b32 s82, s82, 0xffffff                               // 000000014F5C: 8652FF52 00FFFFFF
	s_cmp_lt_u32 s82, s66                                      // 000000014F64: BF0A4252
	s_cselect_b32 s21, s36, s60                                // 000000014F68: 85153C24
	s_mov_b64 exec, s[20:21]                                   // 000000014F6C: BEFE0114
	buffer_store_dword v103, v6, s[8:11], 0 offen              // 000000014F70: E0701000 80026706
	s_mov_b64 exec, s[36:37]                                   // 000000014F78: BEFE0124
	v_mov_b32_e32 v6, v82                                      // 000000014F7C: 7E0C0352
	s_mov_b64 s[60:61], 0                                      // 000000014F80: BEBC0180
	v_readlane_b32 s82, v3, 32                                 // 000000014F84: D2890052 00014103
	s_and_b32 s82, s82, 0xffffff                               // 000000014F8C: 8652FF52 00FFFFFF
	s_cmp_lt_u32 s82, s66                                      // 000000014F94: BF0A4252
	s_cselect_b32 s20, s36, s60                                // 000000014F98: 85143C24
	v_readlane_b32 s82, v3, 33                                 // 000000014F9C: D2890052 00014303
	s_and_b32 s82, s82, 0xffffff                               // 000000014FA4: 8652FF52 00FFFFFF
	s_cmp_lt_u32 s82, s66                                      // 000000014FAC: BF0A4252
	s_cselect_b32 s21, s36, s60                                // 000000014FB0: 85153C24
	s_mov_b64 exec, s[20:21]                                   // 000000014FB4: BEFE0114
	buffer_store_dword v104, v6, s[8:11], 0 offen              // 000000014FB8: E0701000 80026806
	s_mov_b64 exec, s[36:37]                                   // 000000014FC0: BEFE0124
	v_mov_b32_e32 v6, v83                                      // 000000014FC4: 7E0C0353
	s_mov_b64 s[60:61], 0                                      // 000000014FC8: BEBC0180
	v_readlane_b32 s82, v3, 34                                 // 000000014FCC: D2890052 00014503
	s_and_b32 s82, s82, 0xffffff                               // 000000014FD4: 8652FF52 00FFFFFF
	s_cmp_lt_u32 s82, s66                                      // 000000014FDC: BF0A4252
	s_cselect_b32 s20, s36, s60                                // 000000014FE0: 85143C24
	v_readlane_b32 s82, v3, 35                                 // 000000014FE4: D2890052 00014703
	s_and_b32 s82, s82, 0xffffff                               // 000000014FEC: 8652FF52 00FFFFFF
	s_cmp_lt_u32 s82, s66                                      // 000000014FF4: BF0A4252
	s_cselect_b32 s21, s36, s60                                // 000000014FF8: 85153C24
	s_mov_b64 exec, s[20:21]                                   // 000000014FFC: BEFE0114
	buffer_store_dword v105, v6, s[8:11], 0 offen              // 000000015000: E0701000 80026906
	s_mov_b64 exec, s[36:37]                                   // 000000015008: BEFE0124
	s_cmp_eq_u32 s7, 0                                         // 00000001500C: BF068007
	s_cbranch_scc0 label_5300                                  // 000000015010: BF840978
	s_waitcnt vmcnt(18)                                        // 000000015014: BF8C4F72
	s_mov_b32 s8, s90                                          // 000000015018: BE88005A
	s_mov_b32 s9, s91                                          // 00000001501C: BE89005B
	s_mul_i32 s60, s66, s71                                    // 000000015020: 923C4742
	s_add_u32 s8, s60, s8                                      // 000000015024: 8008083C
	s_addc_u32 s9, 0, s9                                       // 000000015028: 82090980
	s_lshr_b32 s71, s71, 5                                     // 00000001502C: 8F478547
	s_mul_i32 s60, s66, s71                                    // 000000015030: 923C4742
	s_mov_b32 s10, s60                                         // 000000015034: BE8A003C
	s_lshr_b32 s61, s65, 5                                     // 000000015038: 8F3D8541
	s_mul_i32 s60, s2, 4                                       // 00000001503C: 923C8402
	v_lshrrev_b32_e32 v4, 24, v30                              // 000000015040: 20083C98
	v_mul_lo_u32 v4, s61, v4                                   // 000000015044: D2850004 0002083D
	v_and_b32_e32 v30, 0xffffff, v30                           // 00000001504C: 263C3CFF 00FFFFFF
	v_mul_lo_u32 v30, s71, v30                                 // 000000015054: D285001E 00023C47
	v_add_u32_e32 v30, v4, v30                                 // 00000001505C: 683C3D04
	v_add_u32_e32 v30, s60, v30                                // 000000015060: 683C3C3C
	v_lshrrev_b32_e32 v4, 24, v31                              // 000000015064: 20083E98
	v_mul_lo_u32 v4, s61, v4                                   // 000000015068: D2850004 0002083D
	v_and_b32_e32 v31, 0xffffff, v31                           // 000000015070: 263E3EFF 00FFFFFF
	v_mul_lo_u32 v31, s71, v31                                 // 000000015078: D285001F 00023E47
	v_add_u32_e32 v31, v4, v31                                 // 000000015080: 683E3F04
	v_add_u32_e32 v31, s60, v31                                // 000000015084: 683E3E3C
	v_lshrrev_b32_e32 v4, 24, v32                              // 000000015088: 20084098
	v_mul_lo_u32 v4, s61, v4                                   // 00000001508C: D2850004 0002083D
	v_and_b32_e32 v32, 0xffffff, v32                           // 000000015094: 264040FF 00FFFFFF
	v_mul_lo_u32 v32, s71, v32                                 // 00000001509C: D2850020 00024047
	v_add_u32_e32 v32, v4, v32                                 // 0000000150A4: 68404104
	v_add_u32_e32 v32, s60, v32                                // 0000000150A8: 6840403C
	v_lshrrev_b32_e32 v4, 24, v33                              // 0000000150AC: 20084298
	v_mul_lo_u32 v4, s61, v4                                   // 0000000150B0: D2850004 0002083D
	v_and_b32_e32 v33, 0xffffff, v33                           // 0000000150B8: 264242FF 00FFFFFF
	v_mul_lo_u32 v33, s71, v33                                 // 0000000150C0: D2850021 00024247
	v_add_u32_e32 v33, v4, v33                                 // 0000000150C8: 68424304
	v_add_u32_e32 v33, s60, v33                                // 0000000150CC: 6842423C
	v_lshrrev_b32_e32 v4, 24, v34                              // 0000000150D0: 20084498
	v_mul_lo_u32 v4, s61, v4                                   // 0000000150D4: D2850004 0002083D
	v_and_b32_e32 v34, 0xffffff, v34                           // 0000000150DC: 264444FF 00FFFFFF
	v_mul_lo_u32 v34, s71, v34                                 // 0000000150E4: D2850022 00024447
	v_add_u32_e32 v34, v4, v34                                 // 0000000150EC: 68444504
	v_add_u32_e32 v34, s60, v34                                // 0000000150F0: 6844443C
	v_lshrrev_b32_e32 v4, 24, v35                              // 0000000150F4: 20084698
	v_mul_lo_u32 v4, s61, v4                                   // 0000000150F8: D2850004 0002083D
	v_and_b32_e32 v35, 0xffffff, v35                           // 000000015100: 264646FF 00FFFFFF
	v_mul_lo_u32 v35, s71, v35                                 // 000000015108: D2850023 00024647
	v_add_u32_e32 v35, v4, v35                                 // 000000015110: 68464704
	v_add_u32_e32 v35, s60, v35                                // 000000015114: 6846463C
	v_lshrrev_b32_e32 v4, 24, v36                              // 000000015118: 20084898
	v_mul_lo_u32 v4, s61, v4                                   // 00000001511C: D2850004 0002083D
	v_and_b32_e32 v36, 0xffffff, v36                           // 000000015124: 264848FF 00FFFFFF
	v_mul_lo_u32 v36, s71, v36                                 // 00000001512C: D2850024 00024847
	v_add_u32_e32 v36, v4, v36                                 // 000000015134: 68484904
	v_add_u32_e32 v36, s60, v36                                // 000000015138: 6848483C
	v_lshrrev_b32_e32 v4, 24, v37                              // 00000001513C: 20084A98
	v_mul_lo_u32 v4, s61, v4                                   // 000000015140: D2850004 0002083D
	v_and_b32_e32 v37, 0xffffff, v37                           // 000000015148: 264A4AFF 00FFFFFF
	v_mul_lo_u32 v37, s71, v37                                 // 000000015150: D2850025 00024A47
	v_add_u32_e32 v37, v4, v37                                 // 000000015158: 684A4B04
	v_add_u32_e32 v37, s60, v37                                // 00000001515C: 684A4A3C
	v_lshrrev_b32_e32 v4, 24, v38                              // 000000015160: 20084C98
	v_mul_lo_u32 v4, s61, v4                                   // 000000015164: D2850004 0002083D
	v_and_b32_e32 v38, 0xffffff, v38                           // 00000001516C: 264C4CFF 00FFFFFF
	v_mul_lo_u32 v38, s71, v38                                 // 000000015174: D2850026 00024C47
	v_add_u32_e32 v38, v4, v38                                 // 00000001517C: 684C4D04
	v_add_u32_e32 v38, s60, v38                                // 000000015180: 684C4C3C
	s_mov_b64 exec, 0xffff                                     // 000000015184: BEFE01FF 0000FFFF
	buffer_store_dword v160, v30, s[8:11], 0 offen             // 00000001518C: E0701000 8002A01E
	buffer_store_dword v161, v31, s[8:11], 0 offen             // 000000015194: E0701000 8002A11F
	buffer_store_dword v162, v32, s[8:11], 0 offen             // 00000001519C: E0701000 8002A220
	buffer_store_dword v163, v33, s[8:11], 0 offen             // 0000000151A4: E0701000 8002A321
	buffer_store_dword v164, v34, s[8:11], 0 offen             // 0000000151AC: E0701000 8002A422
	buffer_store_dword v165, v35, s[8:11], 0 offen             // 0000000151B4: E0701000 8002A523
	buffer_store_dword v166, v36, s[8:11], 0 offen             // 0000000151BC: E0701000 8002A624
	buffer_store_dword v167, v37, s[8:11], 0 offen             // 0000000151C4: E0701000 8002A725
	buffer_store_dword v168, v38, s[8:11], 0 offen             // 0000000151CC: E0701000 8002A826
	s_mov_b64 exec, s[36:37]                                   // 0000000151D4: BEFE0124
	s_branch label_5300                                        // 0000000151D8: BF820906

00000000000151dc <label_49FA>:
	ds_write_b64 v20, v[88:89]                                 // 0000000151DC: D89A0000 00005814
	ds_write_b64 v20, v[92:93] offset:4352                     // 0000000151E4: D89A1100 00005C14
	ds_write_b64 v20, v[96:97] offset:8704                     // 0000000151EC: D89A2200 00006014
	ds_write_b64 v20, v[100:101] offset:13056                  // 0000000151F4: D89A3300 00006414
	ds_write_b64 v20, v[104:105] offset:17408                  // 0000000151FC: D89A4400 00006814
	ds_write_b64 v20, v[108:109] offset:21760                  // 000000015204: D89A5500 00006C14
	ds_write_b64 v20, v[112:113] offset:26112                  // 00000001520C: D89A6600 00007014
	ds_write_b64 v20, v[116:117] offset:30464                  // 000000015214: D89A7700 00007414
	ds_write_b64 v20, v[120:121] offset:34816                  // 00000001521C: D89A8800 00007814
	ds_write_b64 v20, v[124:125] offset:2176                   // 000000015224: D89A0880 00007C14
	ds_write_b64 v20, v[128:129] offset:6528                   // 00000001522C: D89A1980 00008014
	ds_write_b64 v20, v[132:133] offset:10880                  // 000000015234: D89A2A80 00008414
	ds_write_b64 v20, v[136:137] offset:15232                  // 00000001523C: D89A3B80 00008814
	ds_write_b64 v20, v[140:141] offset:19584                  // 000000015244: D89A4C80 00008C14
	ds_write_b64 v20, v[144:145] offset:23936                  // 00000001524C: D89A5D80 00009014
	ds_write_b64 v20, v[148:149] offset:28288                  // 000000015254: D89A6E80 00009414
	ds_write_b64 v20, v[152:153] offset:32640                  // 00000001525C: D89A7F80 00009814
	ds_write_b64 v20, v[156:157] offset:36992                  // 000000015264: D89A9080 00009C14
	v_lshrrev_b32_e32 v4, 5, v0                                // 00000001526C: 20080085
	v_xor_b32_e32 v5, 1, v4                                    // 000000015270: 2A0A0881
	s_mul_i32 s60, s65, 1                                      // 000000015274: 923C8141
	s_cmp_eq_u32 s88, 0                                        // 000000015278: BF068058
	s_cselect_b32 s61, 1, 8                                    // 00000001527C: 853D8881
	s_mul_i32 s60, s61, s60                                    // 000000015280: 923C3C3D
	v_readlane_b32 s82, v3, 0                                  // 000000015284: D2890052 00010103
	s_lshr_b32 s61, s82, 24                                    // 00000001528C: 8F3D9852
	s_and_b32 s82, s82, 0xffffff                               // 000000015290: 8652FF52 00FFFFFF
	s_mul_i32 s82, s82, s71                                    // 000000015298: 92524752
	s_mul_i32 s61, s60, s61                                    // 00000001529C: 923D3D3C
	s_add_u32 s82, s82, s61                                    // 0000000152A0: 80523D52
	v_mul_lo_u32 v6, v5, s82                                   // 0000000152A4: D2850006 0000A505
	v_readlane_b32 s82, v3, 1                                  // 0000000152AC: D2890052 00010303
	s_lshr_b32 s61, s82, 24                                    // 0000000152B4: 8F3D9852
	s_and_b32 s82, s82, 0xffffff                               // 0000000152B8: 8652FF52 00FFFFFF
	s_mul_i32 s82, s82, s71                                    // 0000000152C0: 92524752
	s_mul_i32 s61, s60, s61                                    // 0000000152C4: 923D3D3C
	s_add_u32 s82, s82, s61                                    // 0000000152C8: 80523D52
	v_mul_lo_u32 v7, v4, s82                                   // 0000000152CC: D2850007 0000A504
	v_add_u32_e32 v66, v6, v7                                  // 0000000152D4: 68840F06
	v_readlane_b32 s82, v3, 2                                  // 0000000152D8: D2890052 00010503
	s_lshr_b32 s61, s82, 24                                    // 0000000152E0: 8F3D9852
	s_and_b32 s82, s82, 0xffffff                               // 0000000152E4: 8652FF52 00FFFFFF
	s_mul_i32 s82, s82, s71                                    // 0000000152EC: 92524752
	s_mul_i32 s61, s60, s61                                    // 0000000152F0: 923D3D3C
	s_add_u32 s82, s82, s61                                    // 0000000152F4: 80523D52
	v_mul_lo_u32 v6, v5, s82                                   // 0000000152F8: D2850006 0000A505
	v_readlane_b32 s82, v3, 3                                  // 000000015300: D2890052 00010703
	s_lshr_b32 s61, s82, 24                                    // 000000015308: 8F3D9852
	s_and_b32 s82, s82, 0xffffff                               // 00000001530C: 8652FF52 00FFFFFF
	s_mul_i32 s82, s82, s71                                    // 000000015314: 92524752
	s_mul_i32 s61, s60, s61                                    // 000000015318: 923D3D3C
	s_add_u32 s82, s82, s61                                    // 00000001531C: 80523D52
	v_mul_lo_u32 v7, v4, s82                                   // 000000015320: D2850007 0000A504
	v_add_u32_e32 v67, v6, v7                                  // 000000015328: 68860F06
	v_readlane_b32 s82, v3, 4                                  // 00000001532C: D2890052 00010903
	s_lshr_b32 s61, s82, 24                                    // 000000015334: 8F3D9852
	s_and_b32 s82, s82, 0xffffff                               // 000000015338: 8652FF52 00FFFFFF
	s_mul_i32 s82, s82, s71                                    // 000000015340: 92524752
	s_mul_i32 s61, s60, s61                                    // 000000015344: 923D3D3C
	s_add_u32 s82, s82, s61                                    // 000000015348: 80523D52
	v_mul_lo_u32 v6, v5, s82                                   // 00000001534C: D2850006 0000A505
	v_readlane_b32 s82, v3, 5                                  // 000000015354: D2890052 00010B03
	s_lshr_b32 s61, s82, 24                                    // 00000001535C: 8F3D9852
	s_and_b32 s82, s82, 0xffffff                               // 000000015360: 8652FF52 00FFFFFF
	s_mul_i32 s82, s82, s71                                    // 000000015368: 92524752
	s_mul_i32 s61, s60, s61                                    // 00000001536C: 923D3D3C
	s_add_u32 s82, s82, s61                                    // 000000015370: 80523D52
	v_mul_lo_u32 v7, v4, s82                                   // 000000015374: D2850007 0000A504
	v_add_u32_e32 v68, v6, v7                                  // 00000001537C: 68880F06
	v_readlane_b32 s82, v3, 6                                  // 000000015380: D2890052 00010D03
	s_lshr_b32 s61, s82, 24                                    // 000000015388: 8F3D9852
	s_and_b32 s82, s82, 0xffffff                               // 00000001538C: 8652FF52 00FFFFFF
	s_mul_i32 s82, s82, s71                                    // 000000015394: 92524752
	s_mul_i32 s61, s60, s61                                    // 000000015398: 923D3D3C
	s_add_u32 s82, s82, s61                                    // 00000001539C: 80523D52
	v_mul_lo_u32 v6, v5, s82                                   // 0000000153A0: D2850006 0000A505
	v_readlane_b32 s82, v3, 7                                  // 0000000153A8: D2890052 00010F03
	s_lshr_b32 s61, s82, 24                                    // 0000000153B0: 8F3D9852
	s_and_b32 s82, s82, 0xffffff                               // 0000000153B4: 8652FF52 00FFFFFF
	s_mul_i32 s82, s82, s71                                    // 0000000153BC: 92524752
	s_mul_i32 s61, s60, s61                                    // 0000000153C0: 923D3D3C
	s_add_u32 s82, s82, s61                                    // 0000000153C4: 80523D52
	v_mul_lo_u32 v7, v4, s82                                   // 0000000153C8: D2850007 0000A504
	v_add_u32_e32 v69, v6, v7                                  // 0000000153D0: 688A0F06
	v_readlane_b32 s82, v3, 8                                  // 0000000153D4: D2890052 00011103
	s_lshr_b32 s61, s82, 24                                    // 0000000153DC: 8F3D9852
	s_and_b32 s82, s82, 0xffffff                               // 0000000153E0: 8652FF52 00FFFFFF
	s_mul_i32 s82, s82, s71                                    // 0000000153E8: 92524752
	s_mul_i32 s61, s60, s61                                    // 0000000153EC: 923D3D3C
	s_add_u32 s82, s82, s61                                    // 0000000153F0: 80523D52
	v_mul_lo_u32 v6, v5, s82                                   // 0000000153F4: D2850006 0000A505
	v_readlane_b32 s82, v3, 9                                  // 0000000153FC: D2890052 00011303
	s_lshr_b32 s61, s82, 24                                    // 000000015404: 8F3D9852
	s_and_b32 s82, s82, 0xffffff                               // 000000015408: 8652FF52 00FFFFFF
	s_mul_i32 s82, s82, s71                                    // 000000015410: 92524752
	s_mul_i32 s61, s60, s61                                    // 000000015414: 923D3D3C
	s_add_u32 s82, s82, s61                                    // 000000015418: 80523D52
	v_mul_lo_u32 v7, v4, s82                                   // 00000001541C: D2850007 0000A504
	v_add_u32_e32 v70, v6, v7                                  // 000000015424: 688C0F06
	v_readlane_b32 s82, v3, 10                                 // 000000015428: D2890052 00011503
	s_lshr_b32 s61, s82, 24                                    // 000000015430: 8F3D9852
	s_and_b32 s82, s82, 0xffffff                               // 000000015434: 8652FF52 00FFFFFF
	s_mul_i32 s82, s82, s71                                    // 00000001543C: 92524752
	s_mul_i32 s61, s60, s61                                    // 000000015440: 923D3D3C
	s_add_u32 s82, s82, s61                                    // 000000015444: 80523D52
	v_mul_lo_u32 v6, v5, s82                                   // 000000015448: D2850006 0000A505
	v_readlane_b32 s82, v3, 11                                 // 000000015450: D2890052 00011703
	s_lshr_b32 s61, s82, 24                                    // 000000015458: 8F3D9852
	s_and_b32 s82, s82, 0xffffff                               // 00000001545C: 8652FF52 00FFFFFF
	s_mul_i32 s82, s82, s71                                    // 000000015464: 92524752
	s_mul_i32 s61, s60, s61                                    // 000000015468: 923D3D3C
	s_add_u32 s82, s82, s61                                    // 00000001546C: 80523D52
	v_mul_lo_u32 v7, v4, s82                                   // 000000015470: D2850007 0000A504
	v_add_u32_e32 v71, v6, v7                                  // 000000015478: 688E0F06
	v_readlane_b32 s82, v3, 12                                 // 00000001547C: D2890052 00011903
	s_lshr_b32 s61, s82, 24                                    // 000000015484: 8F3D9852
	s_and_b32 s82, s82, 0xffffff                               // 000000015488: 8652FF52 00FFFFFF
	s_mul_i32 s82, s82, s71                                    // 000000015490: 92524752
	s_mul_i32 s61, s60, s61                                    // 000000015494: 923D3D3C
	s_add_u32 s82, s82, s61                                    // 000000015498: 80523D52
	v_mul_lo_u32 v6, v5, s82                                   // 00000001549C: D2850006 0000A505
	v_readlane_b32 s82, v3, 13                                 // 0000000154A4: D2890052 00011B03
	s_lshr_b32 s61, s82, 24                                    // 0000000154AC: 8F3D9852
	s_and_b32 s82, s82, 0xffffff                               // 0000000154B0: 8652FF52 00FFFFFF
	s_mul_i32 s82, s82, s71                                    // 0000000154B8: 92524752
	s_mul_i32 s61, s60, s61                                    // 0000000154BC: 923D3D3C
	s_add_u32 s82, s82, s61                                    // 0000000154C0: 80523D52
	v_mul_lo_u32 v7, v4, s82                                   // 0000000154C4: D2850007 0000A504
	v_add_u32_e32 v72, v6, v7                                  // 0000000154CC: 68900F06
	v_readlane_b32 s82, v3, 14                                 // 0000000154D0: D2890052 00011D03
	s_lshr_b32 s61, s82, 24                                    // 0000000154D8: 8F3D9852
	s_and_b32 s82, s82, 0xffffff                               // 0000000154DC: 8652FF52 00FFFFFF
	s_mul_i32 s82, s82, s71                                    // 0000000154E4: 92524752
	s_mul_i32 s61, s60, s61                                    // 0000000154E8: 923D3D3C
	s_add_u32 s82, s82, s61                                    // 0000000154EC: 80523D52
	v_mul_lo_u32 v6, v5, s82                                   // 0000000154F0: D2850006 0000A505
	v_readlane_b32 s82, v3, 15                                 // 0000000154F8: D2890052 00011F03
	s_lshr_b32 s61, s82, 24                                    // 000000015500: 8F3D9852
	s_and_b32 s82, s82, 0xffffff                               // 000000015504: 8652FF52 00FFFFFF
	s_mul_i32 s82, s82, s71                                    // 00000001550C: 92524752
	s_mul_i32 s61, s60, s61                                    // 000000015510: 923D3D3C
	s_add_u32 s82, s82, s61                                    // 000000015514: 80523D52
	v_mul_lo_u32 v7, v4, s82                                   // 000000015518: D2850007 0000A504
	v_add_u32_e32 v73, v6, v7                                  // 000000015520: 68920F06
	v_readlane_b32 s82, v3, 16                                 // 000000015524: D2890052 00012103
	s_lshr_b32 s61, s82, 24                                    // 00000001552C: 8F3D9852
	s_and_b32 s82, s82, 0xffffff                               // 000000015530: 8652FF52 00FFFFFF
	s_mul_i32 s82, s82, s71                                    // 000000015538: 92524752
	s_mul_i32 s61, s60, s61                                    // 00000001553C: 923D3D3C
	s_add_u32 s82, s82, s61                                    // 000000015540: 80523D52
	v_mul_lo_u32 v6, v5, s82                                   // 000000015544: D2850006 0000A505
	v_readlane_b32 s82, v3, 17                                 // 00000001554C: D2890052 00012303
	s_lshr_b32 s61, s82, 24                                    // 000000015554: 8F3D9852
	s_and_b32 s82, s82, 0xffffff                               // 000000015558: 8652FF52 00FFFFFF
	s_mul_i32 s82, s82, s71                                    // 000000015560: 92524752
	s_mul_i32 s61, s60, s61                                    // 000000015564: 923D3D3C
	s_add_u32 s82, s82, s61                                    // 000000015568: 80523D52
	v_mul_lo_u32 v7, v4, s82                                   // 00000001556C: D2850007 0000A504
	v_add_u32_e32 v74, v6, v7                                  // 000000015574: 68940F06
	v_readlane_b32 s82, v3, 18                                 // 000000015578: D2890052 00012503
	s_lshr_b32 s61, s82, 24                                    // 000000015580: 8F3D9852
	s_and_b32 s82, s82, 0xffffff                               // 000000015584: 8652FF52 00FFFFFF
	s_mul_i32 s82, s82, s71                                    // 00000001558C: 92524752
	s_mul_i32 s61, s60, s61                                    // 000000015590: 923D3D3C
	s_add_u32 s82, s82, s61                                    // 000000015594: 80523D52
	v_mul_lo_u32 v6, v5, s82                                   // 000000015598: D2850006 0000A505
	v_readlane_b32 s82, v3, 19                                 // 0000000155A0: D2890052 00012703
	s_lshr_b32 s61, s82, 24                                    // 0000000155A8: 8F3D9852
	s_and_b32 s82, s82, 0xffffff                               // 0000000155AC: 8652FF52 00FFFFFF
	s_mul_i32 s82, s82, s71                                    // 0000000155B4: 92524752
	s_mul_i32 s61, s60, s61                                    // 0000000155B8: 923D3D3C
	s_add_u32 s82, s82, s61                                    // 0000000155BC: 80523D52
	v_mul_lo_u32 v7, v4, s82                                   // 0000000155C0: D2850007 0000A504
	v_add_u32_e32 v75, v6, v7                                  // 0000000155C8: 68960F06
	v_readlane_b32 s82, v3, 20                                 // 0000000155CC: D2890052 00012903
	s_lshr_b32 s61, s82, 24                                    // 0000000155D4: 8F3D9852
	s_and_b32 s82, s82, 0xffffff                               // 0000000155D8: 8652FF52 00FFFFFF
	s_mul_i32 s82, s82, s71                                    // 0000000155E0: 92524752
	s_mul_i32 s61, s60, s61                                    // 0000000155E4: 923D3D3C
	s_add_u32 s82, s82, s61                                    // 0000000155E8: 80523D52
	v_mul_lo_u32 v6, v5, s82                                   // 0000000155EC: D2850006 0000A505
	v_readlane_b32 s82, v3, 21                                 // 0000000155F4: D2890052 00012B03
	s_lshr_b32 s61, s82, 24                                    // 0000000155FC: 8F3D9852
	s_and_b32 s82, s82, 0xffffff                               // 000000015600: 8652FF52 00FFFFFF
	s_mul_i32 s82, s82, s71                                    // 000000015608: 92524752
	s_mul_i32 s61, s60, s61                                    // 00000001560C: 923D3D3C
	s_add_u32 s82, s82, s61                                    // 000000015610: 80523D52
	v_mul_lo_u32 v7, v4, s82                                   // 000000015614: D2850007 0000A504
	v_add_u32_e32 v76, v6, v7                                  // 00000001561C: 68980F06
	v_readlane_b32 s82, v3, 22                                 // 000000015620: D2890052 00012D03
	s_lshr_b32 s61, s82, 24                                    // 000000015628: 8F3D9852
	s_and_b32 s82, s82, 0xffffff                               // 00000001562C: 8652FF52 00FFFFFF
	s_mul_i32 s82, s82, s71                                    // 000000015634: 92524752
	s_mul_i32 s61, s60, s61                                    // 000000015638: 923D3D3C
	s_add_u32 s82, s82, s61                                    // 00000001563C: 80523D52
	v_mul_lo_u32 v6, v5, s82                                   // 000000015640: D2850006 0000A505
	v_readlane_b32 s82, v3, 23                                 // 000000015648: D2890052 00012F03
	s_lshr_b32 s61, s82, 24                                    // 000000015650: 8F3D9852
	s_and_b32 s82, s82, 0xffffff                               // 000000015654: 8652FF52 00FFFFFF
	s_mul_i32 s82, s82, s71                                    // 00000001565C: 92524752
	s_mul_i32 s61, s60, s61                                    // 000000015660: 923D3D3C
	s_add_u32 s82, s82, s61                                    // 000000015664: 80523D52
	v_mul_lo_u32 v7, v4, s82                                   // 000000015668: D2850007 0000A504
	v_add_u32_e32 v77, v6, v7                                  // 000000015670: 689A0F06
	v_readlane_b32 s82, v3, 24                                 // 000000015674: D2890052 00013103
	s_lshr_b32 s61, s82, 24                                    // 00000001567C: 8F3D9852
	s_and_b32 s82, s82, 0xffffff                               // 000000015680: 8652FF52 00FFFFFF
	s_mul_i32 s82, s82, s71                                    // 000000015688: 92524752
	s_mul_i32 s61, s60, s61                                    // 00000001568C: 923D3D3C
	s_add_u32 s82, s82, s61                                    // 000000015690: 80523D52
	v_mul_lo_u32 v6, v5, s82                                   // 000000015694: D2850006 0000A505
	v_readlane_b32 s82, v3, 25                                 // 00000001569C: D2890052 00013303
	s_lshr_b32 s61, s82, 24                                    // 0000000156A4: 8F3D9852
	s_and_b32 s82, s82, 0xffffff                               // 0000000156A8: 8652FF52 00FFFFFF
	s_mul_i32 s82, s82, s71                                    // 0000000156B0: 92524752
	s_mul_i32 s61, s60, s61                                    // 0000000156B4: 923D3D3C
	s_add_u32 s82, s82, s61                                    // 0000000156B8: 80523D52
	v_mul_lo_u32 v7, v4, s82                                   // 0000000156BC: D2850007 0000A504
	v_add_u32_e32 v78, v6, v7                                  // 0000000156C4: 689C0F06
	v_readlane_b32 s82, v3, 26                                 // 0000000156C8: D2890052 00013503
	s_lshr_b32 s61, s82, 24                                    // 0000000156D0: 8F3D9852
	s_and_b32 s82, s82, 0xffffff                               // 0000000156D4: 8652FF52 00FFFFFF
	s_mul_i32 s82, s82, s71                                    // 0000000156DC: 92524752
	s_mul_i32 s61, s60, s61                                    // 0000000156E0: 923D3D3C
	s_add_u32 s82, s82, s61                                    // 0000000156E4: 80523D52
	v_mul_lo_u32 v6, v5, s82                                   // 0000000156E8: D2850006 0000A505
	v_readlane_b32 s82, v3, 27                                 // 0000000156F0: D2890052 00013703
	s_lshr_b32 s61, s82, 24                                    // 0000000156F8: 8F3D9852
	s_and_b32 s82, s82, 0xffffff                               // 0000000156FC: 8652FF52 00FFFFFF
	s_mul_i32 s82, s82, s71                                    // 000000015704: 92524752
	s_mul_i32 s61, s60, s61                                    // 000000015708: 923D3D3C
	s_add_u32 s82, s82, s61                                    // 00000001570C: 80523D52
	v_mul_lo_u32 v7, v4, s82                                   // 000000015710: D2850007 0000A504
	v_add_u32_e32 v79, v6, v7                                  // 000000015718: 689E0F06
	v_readlane_b32 s82, v3, 28                                 // 00000001571C: D2890052 00013903
	s_lshr_b32 s61, s82, 24                                    // 000000015724: 8F3D9852
	s_and_b32 s82, s82, 0xffffff                               // 000000015728: 8652FF52 00FFFFFF
	s_mul_i32 s82, s82, s71                                    // 000000015730: 92524752
	s_mul_i32 s61, s60, s61                                    // 000000015734: 923D3D3C
	s_add_u32 s82, s82, s61                                    // 000000015738: 80523D52
	v_mul_lo_u32 v6, v5, s82                                   // 00000001573C: D2850006 0000A505
	v_readlane_b32 s82, v3, 29                                 // 000000015744: D2890052 00013B03
	s_lshr_b32 s61, s82, 24                                    // 00000001574C: 8F3D9852
	s_and_b32 s82, s82, 0xffffff                               // 000000015750: 8652FF52 00FFFFFF
	s_mul_i32 s82, s82, s71                                    // 000000015758: 92524752
	s_mul_i32 s61, s60, s61                                    // 00000001575C: 923D3D3C
	s_add_u32 s82, s82, s61                                    // 000000015760: 80523D52
	v_mul_lo_u32 v7, v4, s82                                   // 000000015764: D2850007 0000A504
	v_add_u32_e32 v80, v6, v7                                  // 00000001576C: 68A00F06
	v_readlane_b32 s82, v3, 30                                 // 000000015770: D2890052 00013D03
	s_lshr_b32 s61, s82, 24                                    // 000000015778: 8F3D9852
	s_and_b32 s82, s82, 0xffffff                               // 00000001577C: 8652FF52 00FFFFFF
	s_mul_i32 s82, s82, s71                                    // 000000015784: 92524752
	s_mul_i32 s61, s60, s61                                    // 000000015788: 923D3D3C
	s_add_u32 s82, s82, s61                                    // 00000001578C: 80523D52
	v_mul_lo_u32 v6, v5, s82                                   // 000000015790: D2850006 0000A505
	v_readlane_b32 s82, v3, 31                                 // 000000015798: D2890052 00013F03
	s_lshr_b32 s61, s82, 24                                    // 0000000157A0: 8F3D9852
	s_and_b32 s82, s82, 0xffffff                               // 0000000157A4: 8652FF52 00FFFFFF
	s_mul_i32 s82, s82, s71                                    // 0000000157AC: 92524752
	s_mul_i32 s61, s60, s61                                    // 0000000157B0: 923D3D3C
	s_add_u32 s82, s82, s61                                    // 0000000157B4: 80523D52
	v_mul_lo_u32 v7, v4, s82                                   // 0000000157B8: D2850007 0000A504
	v_add_u32_e32 v81, v6, v7                                  // 0000000157C0: 68A20F06
	v_readlane_b32 s82, v3, 32                                 // 0000000157C4: D2890052 00014103
	s_lshr_b32 s61, s82, 24                                    // 0000000157CC: 8F3D9852
	s_and_b32 s82, s82, 0xffffff                               // 0000000157D0: 8652FF52 00FFFFFF
	s_mul_i32 s82, s82, s71                                    // 0000000157D8: 92524752
	s_mul_i32 s61, s60, s61                                    // 0000000157DC: 923D3D3C
	s_add_u32 s82, s82, s61                                    // 0000000157E0: 80523D52
	v_mul_lo_u32 v6, v5, s82                                   // 0000000157E4: D2850006 0000A505
	v_readlane_b32 s82, v3, 33                                 // 0000000157EC: D2890052 00014303
	s_lshr_b32 s61, s82, 24                                    // 0000000157F4: 8F3D9852
	s_and_b32 s82, s82, 0xffffff                               // 0000000157F8: 8652FF52 00FFFFFF
	s_mul_i32 s82, s82, s71                                    // 000000015800: 92524752
	s_mul_i32 s61, s60, s61                                    // 000000015804: 923D3D3C
	s_add_u32 s82, s82, s61                                    // 000000015808: 80523D52
	v_mul_lo_u32 v7, v4, s82                                   // 00000001580C: D2850007 0000A504
	v_add_u32_e32 v82, v6, v7                                  // 000000015814: 68A40F06
	v_readlane_b32 s82, v3, 34                                 // 000000015818: D2890052 00014503
	s_lshr_b32 s61, s82, 24                                    // 000000015820: 8F3D9852
	s_and_b32 s82, s82, 0xffffff                               // 000000015824: 8652FF52 00FFFFFF
	s_mul_i32 s82, s82, s71                                    // 00000001582C: 92524752
	s_mul_i32 s61, s60, s61                                    // 000000015830: 923D3D3C
	s_add_u32 s82, s82, s61                                    // 000000015834: 80523D52
	v_mul_lo_u32 v6, v5, s82                                   // 000000015838: D2850006 0000A505
	v_readlane_b32 s82, v3, 35                                 // 000000015840: D2890052 00014703
	s_lshr_b32 s61, s82, 24                                    // 000000015848: 8F3D9852
	s_and_b32 s82, s82, 0xffffff                               // 00000001584C: 8652FF52 00FFFFFF
	s_mul_i32 s82, s82, s71                                    // 000000015854: 92524752
	s_mul_i32 s61, s60, s61                                    // 000000015858: 923D3D3C
	s_add_u32 s82, s82, s61                                    // 00000001585C: 80523D52
	v_mul_lo_u32 v7, v4, s82                                   // 000000015860: D2850007 0000A504
	v_add_u32_e32 v83, v6, v7                                  // 000000015868: 68A60F06
	v_and_b32_e32 v4, 31, v0                                   // 00000001586C: 2608009F
	v_lshrrev_b32_e32 v4, 1, v4                                // 000000015870: 20080881
	s_cmp_eq_u32 s88, 0                                        // 000000015874: BF068058
	s_cselect_b32 s61, 2, 4                                    // 000000015878: 853D8482
	v_mul_lo_u32 v4, v4, s61                                   // 00000001587C: D2850004 00007B04
	v_and_b32_e64 v5, v0, 1                                    // 000000015884: D1130005 00010300
	v_add_u32_e32 v4, v4, v5                                   // 00000001588C: 68080B04
	v_lshlrev_b32_e32 v4, 2, v4                                // 000000015890: 24080882
	v_add_u32_e32 v66, v66, v4                                 // 000000015894: 68840942
	v_add_u32_e32 v67, v67, v4                                 // 000000015898: 68860943
	v_add_u32_e32 v68, v68, v4                                 // 00000001589C: 68880944
	v_add_u32_e32 v69, v69, v4                                 // 0000000158A0: 688A0945
	v_add_u32_e32 v70, v70, v4                                 // 0000000158A4: 688C0946
	v_add_u32_e32 v71, v71, v4                                 // 0000000158A8: 688E0947
	v_add_u32_e32 v72, v72, v4                                 // 0000000158AC: 68900948
	v_add_u32_e32 v73, v73, v4                                 // 0000000158B0: 68920949
	v_add_u32_e32 v74, v74, v4                                 // 0000000158B4: 6894094A
	v_add_u32_e32 v75, v75, v4                                 // 0000000158B8: 6896094B
	v_add_u32_e32 v76, v76, v4                                 // 0000000158BC: 6898094C
	v_add_u32_e32 v77, v77, v4                                 // 0000000158C0: 689A094D
	v_add_u32_e32 v78, v78, v4                                 // 0000000158C4: 689C094E
	v_add_u32_e32 v79, v79, v4                                 // 0000000158C8: 689E094F
	v_add_u32_e32 v80, v80, v4                                 // 0000000158CC: 68A00950
	v_add_u32_e32 v81, v81, v4                                 // 0000000158D0: 68A20951
	v_add_u32_e32 v82, v82, v4                                 // 0000000158D4: 68A40952
	v_add_u32_e32 v83, v83, v4                                 // 0000000158D8: 68A60953
	s_waitcnt lgkmcnt(0)                                       // 0000000158DC: BF8CC07F
	s_barrier                                                  // 0000000158E0: BF8A0000
	ds_read_b32 v88, v21                                       // 0000000158E4: D86C0000 58000015
	ds_read_b32 v89, v21 offset:64                             // 0000000158EC: D86C0040 59000015
	ds_read_b32 v92, v21 offset:2176                           // 0000000158F4: D86C0880 5C000015
	ds_read_b32 v93, v21 offset:2240                           // 0000000158FC: D86C08C0 5D000015
	ds_read_b32 v96, v21 offset:4352                           // 000000015904: D86C1100 60000015
	ds_read_b32 v97, v21 offset:4416                           // 00000001590C: D86C1140 61000015
	ds_read_b32 v100, v21 offset:6528                          // 000000015914: D86C1980 64000015
	ds_read_b32 v101, v21 offset:6592                          // 00000001591C: D86C19C0 65000015
	ds_read_b32 v104, v21 offset:8704                          // 000000015924: D86C2200 68000015
	ds_read_b32 v105, v21 offset:8768                          // 00000001592C: D86C2240 69000015
	ds_read_b32 v108, v21 offset:10880                         // 000000015934: D86C2A80 6C000015
	ds_read_b32 v109, v21 offset:10944                         // 00000001593C: D86C2AC0 6D000015
	ds_read_b32 v112, v21 offset:13056                         // 000000015944: D86C3300 70000015
	ds_read_b32 v113, v21 offset:13120                         // 00000001594C: D86C3340 71000015
	ds_read_b32 v116, v21 offset:15232                         // 000000015954: D86C3B80 74000015
	ds_read_b32 v117, v21 offset:15296                         // 00000001595C: D86C3BC0 75000015
	ds_read_b32 v120, v21 offset:17408                         // 000000015964: D86C4400 78000015
	ds_read_b32 v121, v21 offset:17472                         // 00000001596C: D86C4440 79000015
	ds_read_b32 v124, v21 offset:19584                         // 000000015974: D86C4C80 7C000015
	ds_read_b32 v125, v21 offset:19648                         // 00000001597C: D86C4CC0 7D000015
	ds_read_b32 v128, v21 offset:21760                         // 000000015984: D86C5500 80000015
	ds_read_b32 v129, v21 offset:21824                         // 00000001598C: D86C5540 81000015
	ds_read_b32 v132, v21 offset:23936                         // 000000015994: D86C5D80 84000015
	ds_read_b32 v133, v21 offset:24000                         // 00000001599C: D86C5DC0 85000015
	ds_read_b32 v136, v21 offset:26112                         // 0000000159A4: D86C6600 88000015
	ds_read_b32 v137, v21 offset:26176                         // 0000000159AC: D86C6640 89000015
	ds_read_b32 v140, v21 offset:28288                         // 0000000159B4: D86C6E80 8C000015
	ds_read_b32 v141, v21 offset:28352                         // 0000000159BC: D86C6EC0 8D000015
	ds_read_b32 v144, v21 offset:30464                         // 0000000159C4: D86C7700 90000015
	ds_read_b32 v145, v21 offset:30528                         // 0000000159CC: D86C7740 91000015
	ds_read_b32 v148, v21 offset:32640                         // 0000000159D4: D86C7F80 94000015
	ds_read_b32 v149, v21 offset:32704                         // 0000000159DC: D86C7FC0 95000015
	ds_read_b32 v152, v21 offset:34816                         // 0000000159E4: D86C8800 98000015
	ds_read_b32 v153, v21 offset:34880                         // 0000000159EC: D86C8840 99000015
	ds_read_b32 v156, v21 offset:36992                         // 0000000159F4: D86C9080 9C000015
	ds_read_b32 v157, v21 offset:37056                         // 0000000159FC: D86C90C0 9D000015
	s_waitcnt lgkmcnt(0)                                       // 000000015A04: BF8CC07F
	s_mov_b32 s36, -1                                          // 000000015A08: BEA400C1
	s_mov_b32 s37, -1                                          // 000000015A0C: BEA500C1
	v_mov_b32_e32 v7, 0                                        // 000000015A10: 7E0E0280
	s_mov_b64 exec, s[36:37]                                   // 000000015A14: BEFE0124
	v_mov_b32_e32 v6, v66                                      // 000000015A18: 7E0C0342
	s_mov_b64 s[60:61], 0                                      // 000000015A1C: BEBC0180
	v_readlane_b32 s82, v3, 0                                  // 000000015A20: D2890052 00010103
	s_and_b32 s82, s82, 0xffffff                               // 000000015A28: 8652FF52 00FFFFFF
	s_cmp_lt_u32 s82, s66                                      // 000000015A30: BF0A4252
	s_cselect_b32 s20, s36, s60                                // 000000015A34: 85143C24
	v_readlane_b32 s82, v3, 1                                  // 000000015A38: D2890052 00010303
	s_and_b32 s82, s82, 0xffffff                               // 000000015A40: 8652FF52 00FFFFFF
	s_cmp_lt_u32 s82, s66                                      // 000000015A48: BF0A4252
	s_cselect_b32 s21, s36, s60                                // 000000015A4C: 85153C24
	s_mov_b64 exec, s[20:21]                                   // 000000015A50: BEFE0114
	global_atomic_add_f32 v6, v88, s[8:9]                      // 000000015A54: DD348000 00085806
	global_atomic_add_f32 v6, v92, s[8:9] offset:256           // 000000015A5C: DD348100 00085C06
	s_mov_b64 exec, s[36:37]                                   // 000000015A64: BEFE0124
	v_mov_b32_e32 v6, v67                                      // 000000015A68: 7E0C0343
	s_mov_b64 s[60:61], 0                                      // 000000015A6C: BEBC0180
	v_readlane_b32 s82, v3, 2                                  // 000000015A70: D2890052 00010503
	s_and_b32 s82, s82, 0xffffff                               // 000000015A78: 8652FF52 00FFFFFF
	s_cmp_lt_u32 s82, s66                                      // 000000015A80: BF0A4252
	s_cselect_b32 s20, s36, s60                                // 000000015A84: 85143C24
	v_readlane_b32 s82, v3, 3                                  // 000000015A88: D2890052 00010703
	s_and_b32 s82, s82, 0xffffff                               // 000000015A90: 8652FF52 00FFFFFF
	s_cmp_lt_u32 s82, s66                                      // 000000015A98: BF0A4252
	s_cselect_b32 s21, s36, s60                                // 000000015A9C: 85153C24
	s_mov_b64 exec, s[20:21]                                   // 000000015AA0: BEFE0114
	global_atomic_add_f32 v6, v89, s[8:9]                      // 000000015AA4: DD348000 00085906
	global_atomic_add_f32 v6, v93, s[8:9] offset:256           // 000000015AAC: DD348100 00085D06
	s_mov_b64 exec, s[36:37]                                   // 000000015AB4: BEFE0124
	v_mov_b32_e32 v6, v68                                      // 000000015AB8: 7E0C0344
	s_mov_b64 s[60:61], 0                                      // 000000015ABC: BEBC0180
	v_readlane_b32 s82, v3, 4                                  // 000000015AC0: D2890052 00010903
	s_and_b32 s82, s82, 0xffffff                               // 000000015AC8: 8652FF52 00FFFFFF
	s_cmp_lt_u32 s82, s66                                      // 000000015AD0: BF0A4252
	s_cselect_b32 s20, s36, s60                                // 000000015AD4: 85143C24
	v_readlane_b32 s82, v3, 5                                  // 000000015AD8: D2890052 00010B03
	s_and_b32 s82, s82, 0xffffff                               // 000000015AE0: 8652FF52 00FFFFFF
	s_cmp_lt_u32 s82, s66                                      // 000000015AE8: BF0A4252
	s_cselect_b32 s21, s36, s60                                // 000000015AEC: 85153C24
	s_mov_b64 exec, s[20:21]                                   // 000000015AF0: BEFE0114
	global_atomic_add_f32 v6, v96, s[8:9]                      // 000000015AF4: DD348000 00086006
	global_atomic_add_f32 v6, v100, s[8:9] offset:256          // 000000015AFC: DD348100 00086406
	s_mov_b64 exec, s[36:37]                                   // 000000015B04: BEFE0124
	v_mov_b32_e32 v6, v69                                      // 000000015B08: 7E0C0345
	s_mov_b64 s[60:61], 0                                      // 000000015B0C: BEBC0180
	v_readlane_b32 s82, v3, 6                                  // 000000015B10: D2890052 00010D03
	s_and_b32 s82, s82, 0xffffff                               // 000000015B18: 8652FF52 00FFFFFF
	s_cmp_lt_u32 s82, s66                                      // 000000015B20: BF0A4252
	s_cselect_b32 s20, s36, s60                                // 000000015B24: 85143C24
	v_readlane_b32 s82, v3, 7                                  // 000000015B28: D2890052 00010F03
	s_and_b32 s82, s82, 0xffffff                               // 000000015B30: 8652FF52 00FFFFFF
	s_cmp_lt_u32 s82, s66                                      // 000000015B38: BF0A4252
	s_cselect_b32 s21, s36, s60                                // 000000015B3C: 85153C24
	s_mov_b64 exec, s[20:21]                                   // 000000015B40: BEFE0114
	global_atomic_add_f32 v6, v97, s[8:9]                      // 000000015B44: DD348000 00086106
	global_atomic_add_f32 v6, v101, s[8:9] offset:256          // 000000015B4C: DD348100 00086506
	s_mov_b64 exec, s[36:37]                                   // 000000015B54: BEFE0124
	v_mov_b32_e32 v6, v70                                      // 000000015B58: 7E0C0346
	s_mov_b64 s[60:61], 0                                      // 000000015B5C: BEBC0180
	v_readlane_b32 s82, v3, 8                                  // 000000015B60: D2890052 00011103
	s_and_b32 s82, s82, 0xffffff                               // 000000015B68: 8652FF52 00FFFFFF
	s_cmp_lt_u32 s82, s66                                      // 000000015B70: BF0A4252
	s_cselect_b32 s20, s36, s60                                // 000000015B74: 85143C24
	v_readlane_b32 s82, v3, 9                                  // 000000015B78: D2890052 00011303
	s_and_b32 s82, s82, 0xffffff                               // 000000015B80: 8652FF52 00FFFFFF
	s_cmp_lt_u32 s82, s66                                      // 000000015B88: BF0A4252
	s_cselect_b32 s21, s36, s60                                // 000000015B8C: 85153C24
	s_mov_b64 exec, s[20:21]                                   // 000000015B90: BEFE0114
	global_atomic_add_f32 v6, v104, s[8:9]                     // 000000015B94: DD348000 00086806
	global_atomic_add_f32 v6, v108, s[8:9] offset:256          // 000000015B9C: DD348100 00086C06
	s_mov_b64 exec, s[36:37]                                   // 000000015BA4: BEFE0124
	v_mov_b32_e32 v6, v71                                      // 000000015BA8: 7E0C0347
	s_mov_b64 s[60:61], 0                                      // 000000015BAC: BEBC0180
	v_readlane_b32 s82, v3, 10                                 // 000000015BB0: D2890052 00011503
	s_and_b32 s82, s82, 0xffffff                               // 000000015BB8: 8652FF52 00FFFFFF
	s_cmp_lt_u32 s82, s66                                      // 000000015BC0: BF0A4252
	s_cselect_b32 s20, s36, s60                                // 000000015BC4: 85143C24
	v_readlane_b32 s82, v3, 11                                 // 000000015BC8: D2890052 00011703
	s_and_b32 s82, s82, 0xffffff                               // 000000015BD0: 8652FF52 00FFFFFF
	s_cmp_lt_u32 s82, s66                                      // 000000015BD8: BF0A4252
	s_cselect_b32 s21, s36, s60                                // 000000015BDC: 85153C24
	s_mov_b64 exec, s[20:21]                                   // 000000015BE0: BEFE0114
	global_atomic_add_f32 v6, v105, s[8:9]                     // 000000015BE4: DD348000 00086906
	global_atomic_add_f32 v6, v109, s[8:9] offset:256          // 000000015BEC: DD348100 00086D06
	s_mov_b64 exec, s[36:37]                                   // 000000015BF4: BEFE0124
	v_mov_b32_e32 v6, v72                                      // 000000015BF8: 7E0C0348
	s_mov_b64 s[60:61], 0                                      // 000000015BFC: BEBC0180
	v_readlane_b32 s82, v3, 12                                 // 000000015C00: D2890052 00011903
	s_and_b32 s82, s82, 0xffffff                               // 000000015C08: 8652FF52 00FFFFFF
	s_cmp_lt_u32 s82, s66                                      // 000000015C10: BF0A4252
	s_cselect_b32 s20, s36, s60                                // 000000015C14: 85143C24
	v_readlane_b32 s82, v3, 13                                 // 000000015C18: D2890052 00011B03
	s_and_b32 s82, s82, 0xffffff                               // 000000015C20: 8652FF52 00FFFFFF
	s_cmp_lt_u32 s82, s66                                      // 000000015C28: BF0A4252
	s_cselect_b32 s21, s36, s60                                // 000000015C2C: 85153C24
	s_mov_b64 exec, s[20:21]                                   // 000000015C30: BEFE0114
	global_atomic_add_f32 v6, v112, s[8:9]                     // 000000015C34: DD348000 00087006
	global_atomic_add_f32 v6, v116, s[8:9] offset:256          // 000000015C3C: DD348100 00087406
	s_mov_b64 exec, s[36:37]                                   // 000000015C44: BEFE0124
	v_mov_b32_e32 v6, v73                                      // 000000015C48: 7E0C0349
	s_mov_b64 s[60:61], 0                                      // 000000015C4C: BEBC0180
	v_readlane_b32 s82, v3, 14                                 // 000000015C50: D2890052 00011D03
	s_and_b32 s82, s82, 0xffffff                               // 000000015C58: 8652FF52 00FFFFFF
	s_cmp_lt_u32 s82, s66                                      // 000000015C60: BF0A4252
	s_cselect_b32 s20, s36, s60                                // 000000015C64: 85143C24
	v_readlane_b32 s82, v3, 15                                 // 000000015C68: D2890052 00011F03
	s_and_b32 s82, s82, 0xffffff                               // 000000015C70: 8652FF52 00FFFFFF
	s_cmp_lt_u32 s82, s66                                      // 000000015C78: BF0A4252
	s_cselect_b32 s21, s36, s60                                // 000000015C7C: 85153C24
	s_mov_b64 exec, s[20:21]                                   // 000000015C80: BEFE0114
	global_atomic_add_f32 v6, v113, s[8:9]                     // 000000015C84: DD348000 00087106
	global_atomic_add_f32 v6, v117, s[8:9] offset:256          // 000000015C8C: DD348100 00087506
	s_mov_b64 exec, s[36:37]                                   // 000000015C94: BEFE0124
	v_mov_b32_e32 v6, v74                                      // 000000015C98: 7E0C034A
	s_mov_b64 s[60:61], 0                                      // 000000015C9C: BEBC0180
	v_readlane_b32 s82, v3, 16                                 // 000000015CA0: D2890052 00012103
	s_and_b32 s82, s82, 0xffffff                               // 000000015CA8: 8652FF52 00FFFFFF
	s_cmp_lt_u32 s82, s66                                      // 000000015CB0: BF0A4252
	s_cselect_b32 s20, s36, s60                                // 000000015CB4: 85143C24
	v_readlane_b32 s82, v3, 17                                 // 000000015CB8: D2890052 00012303
	s_and_b32 s82, s82, 0xffffff                               // 000000015CC0: 8652FF52 00FFFFFF
	s_cmp_lt_u32 s82, s66                                      // 000000015CC8: BF0A4252
	s_cselect_b32 s21, s36, s60                                // 000000015CCC: 85153C24
	s_mov_b64 exec, s[20:21]                                   // 000000015CD0: BEFE0114
	global_atomic_add_f32 v6, v120, s[8:9]                     // 000000015CD4: DD348000 00087806
	global_atomic_add_f32 v6, v124, s[8:9] offset:256          // 000000015CDC: DD348100 00087C06
	s_mov_b64 exec, s[36:37]                                   // 000000015CE4: BEFE0124
	v_mov_b32_e32 v6, v75                                      // 000000015CE8: 7E0C034B
	s_mov_b64 s[60:61], 0                                      // 000000015CEC: BEBC0180
	v_readlane_b32 s82, v3, 18                                 // 000000015CF0: D2890052 00012503
	s_and_b32 s82, s82, 0xffffff                               // 000000015CF8: 8652FF52 00FFFFFF
	s_cmp_lt_u32 s82, s66                                      // 000000015D00: BF0A4252
	s_cselect_b32 s20, s36, s60                                // 000000015D04: 85143C24
	v_readlane_b32 s82, v3, 19                                 // 000000015D08: D2890052 00012703
	s_and_b32 s82, s82, 0xffffff                               // 000000015D10: 8652FF52 00FFFFFF
	s_cmp_lt_u32 s82, s66                                      // 000000015D18: BF0A4252
	s_cselect_b32 s21, s36, s60                                // 000000015D1C: 85153C24
	s_mov_b64 exec, s[20:21]                                   // 000000015D20: BEFE0114
	global_atomic_add_f32 v6, v121, s[8:9]                     // 000000015D24: DD348000 00087906
	global_atomic_add_f32 v6, v125, s[8:9] offset:256          // 000000015D2C: DD348100 00087D06
	s_mov_b64 exec, s[36:37]                                   // 000000015D34: BEFE0124
	v_mov_b32_e32 v6, v76                                      // 000000015D38: 7E0C034C
	s_mov_b64 s[60:61], 0                                      // 000000015D3C: BEBC0180
	v_readlane_b32 s82, v3, 20                                 // 000000015D40: D2890052 00012903
	s_and_b32 s82, s82, 0xffffff                               // 000000015D48: 8652FF52 00FFFFFF
	s_cmp_lt_u32 s82, s66                                      // 000000015D50: BF0A4252
	s_cselect_b32 s20, s36, s60                                // 000000015D54: 85143C24
	v_readlane_b32 s82, v3, 21                                 // 000000015D58: D2890052 00012B03
	s_and_b32 s82, s82, 0xffffff                               // 000000015D60: 8652FF52 00FFFFFF
	s_cmp_lt_u32 s82, s66                                      // 000000015D68: BF0A4252
	s_cselect_b32 s21, s36, s60                                // 000000015D6C: 85153C24
	s_mov_b64 exec, s[20:21]                                   // 000000015D70: BEFE0114
	global_atomic_add_f32 v6, v128, s[8:9]                     // 000000015D74: DD348000 00088006
	global_atomic_add_f32 v6, v132, s[8:9] offset:256          // 000000015D7C: DD348100 00088406
	s_mov_b64 exec, s[36:37]                                   // 000000015D84: BEFE0124
	v_mov_b32_e32 v6, v77                                      // 000000015D88: 7E0C034D
	s_mov_b64 s[60:61], 0                                      // 000000015D8C: BEBC0180
	v_readlane_b32 s82, v3, 22                                 // 000000015D90: D2890052 00012D03
	s_and_b32 s82, s82, 0xffffff                               // 000000015D98: 8652FF52 00FFFFFF
	s_cmp_lt_u32 s82, s66                                      // 000000015DA0: BF0A4252
	s_cselect_b32 s20, s36, s60                                // 000000015DA4: 85143C24
	v_readlane_b32 s82, v3, 23                                 // 000000015DA8: D2890052 00012F03
	s_and_b32 s82, s82, 0xffffff                               // 000000015DB0: 8652FF52 00FFFFFF
	s_cmp_lt_u32 s82, s66                                      // 000000015DB8: BF0A4252
	s_cselect_b32 s21, s36, s60                                // 000000015DBC: 85153C24
	s_mov_b64 exec, s[20:21]                                   // 000000015DC0: BEFE0114
	global_atomic_add_f32 v6, v129, s[8:9]                     // 000000015DC4: DD348000 00088106
	global_atomic_add_f32 v6, v133, s[8:9] offset:256          // 000000015DCC: DD348100 00088506
	s_mov_b64 exec, s[36:37]                                   // 000000015DD4: BEFE0124
	v_mov_b32_e32 v6, v78                                      // 000000015DD8: 7E0C034E
	s_mov_b64 s[60:61], 0                                      // 000000015DDC: BEBC0180
	v_readlane_b32 s82, v3, 24                                 // 000000015DE0: D2890052 00013103
	s_and_b32 s82, s82, 0xffffff                               // 000000015DE8: 8652FF52 00FFFFFF
	s_cmp_lt_u32 s82, s66                                      // 000000015DF0: BF0A4252
	s_cselect_b32 s20, s36, s60                                // 000000015DF4: 85143C24
	v_readlane_b32 s82, v3, 25                                 // 000000015DF8: D2890052 00013303
	s_and_b32 s82, s82, 0xffffff                               // 000000015E00: 8652FF52 00FFFFFF
	s_cmp_lt_u32 s82, s66                                      // 000000015E08: BF0A4252
	s_cselect_b32 s21, s36, s60                                // 000000015E0C: 85153C24
	s_mov_b64 exec, s[20:21]                                   // 000000015E10: BEFE0114
	global_atomic_add_f32 v6, v136, s[8:9]                     // 000000015E14: DD348000 00088806
	global_atomic_add_f32 v6, v140, s[8:9] offset:256          // 000000015E1C: DD348100 00088C06
	s_mov_b64 exec, s[36:37]                                   // 000000015E24: BEFE0124
	v_mov_b32_e32 v6, v79                                      // 000000015E28: 7E0C034F
	s_mov_b64 s[60:61], 0                                      // 000000015E2C: BEBC0180
	v_readlane_b32 s82, v3, 26                                 // 000000015E30: D2890052 00013503
	s_and_b32 s82, s82, 0xffffff                               // 000000015E38: 8652FF52 00FFFFFF
	s_cmp_lt_u32 s82, s66                                      // 000000015E40: BF0A4252
	s_cselect_b32 s20, s36, s60                                // 000000015E44: 85143C24
	v_readlane_b32 s82, v3, 27                                 // 000000015E48: D2890052 00013703
	s_and_b32 s82, s82, 0xffffff                               // 000000015E50: 8652FF52 00FFFFFF
	s_cmp_lt_u32 s82, s66                                      // 000000015E58: BF0A4252
	s_cselect_b32 s21, s36, s60                                // 000000015E5C: 85153C24
	s_mov_b64 exec, s[20:21]                                   // 000000015E60: BEFE0114
	global_atomic_add_f32 v6, v137, s[8:9]                     // 000000015E64: DD348000 00088906
	global_atomic_add_f32 v6, v141, s[8:9] offset:256          // 000000015E6C: DD348100 00088D06
	s_mov_b64 exec, s[36:37]                                   // 000000015E74: BEFE0124
	v_mov_b32_e32 v6, v80                                      // 000000015E78: 7E0C0350
	s_mov_b64 s[60:61], 0                                      // 000000015E7C: BEBC0180
	v_readlane_b32 s82, v3, 28                                 // 000000015E80: D2890052 00013903
	s_and_b32 s82, s82, 0xffffff                               // 000000015E88: 8652FF52 00FFFFFF
	s_cmp_lt_u32 s82, s66                                      // 000000015E90: BF0A4252
	s_cselect_b32 s20, s36, s60                                // 000000015E94: 85143C24
	v_readlane_b32 s82, v3, 29                                 // 000000015E98: D2890052 00013B03
	s_and_b32 s82, s82, 0xffffff                               // 000000015EA0: 8652FF52 00FFFFFF
	s_cmp_lt_u32 s82, s66                                      // 000000015EA8: BF0A4252
	s_cselect_b32 s21, s36, s60                                // 000000015EAC: 85153C24
	s_mov_b64 exec, s[20:21]                                   // 000000015EB0: BEFE0114
	global_atomic_add_f32 v6, v144, s[8:9]                     // 000000015EB4: DD348000 00089006
	global_atomic_add_f32 v6, v148, s[8:9] offset:256          // 000000015EBC: DD348100 00089406
	s_mov_b64 exec, s[36:37]                                   // 000000015EC4: BEFE0124
	v_mov_b32_e32 v6, v81                                      // 000000015EC8: 7E0C0351
	s_mov_b64 s[60:61], 0                                      // 000000015ECC: BEBC0180
	v_readlane_b32 s82, v3, 30                                 // 000000015ED0: D2890052 00013D03
	s_and_b32 s82, s82, 0xffffff                               // 000000015ED8: 8652FF52 00FFFFFF
	s_cmp_lt_u32 s82, s66                                      // 000000015EE0: BF0A4252
	s_cselect_b32 s20, s36, s60                                // 000000015EE4: 85143C24
	v_readlane_b32 s82, v3, 31                                 // 000000015EE8: D2890052 00013F03
	s_and_b32 s82, s82, 0xffffff                               // 000000015EF0: 8652FF52 00FFFFFF
	s_cmp_lt_u32 s82, s66                                      // 000000015EF8: BF0A4252
	s_cselect_b32 s21, s36, s60                                // 000000015EFC: 85153C24
	s_mov_b64 exec, s[20:21]                                   // 000000015F00: BEFE0114
	global_atomic_add_f32 v6, v145, s[8:9]                     // 000000015F04: DD348000 00089106
	global_atomic_add_f32 v6, v149, s[8:9] offset:256          // 000000015F0C: DD348100 00089506
	s_mov_b64 exec, s[36:37]                                   // 000000015F14: BEFE0124
	v_mov_b32_e32 v6, v82                                      // 000000015F18: 7E0C0352
	s_mov_b64 s[60:61], 0                                      // 000000015F1C: BEBC0180
	v_readlane_b32 s82, v3, 32                                 // 000000015F20: D2890052 00014103
	s_and_b32 s82, s82, 0xffffff                               // 000000015F28: 8652FF52 00FFFFFF
	s_cmp_lt_u32 s82, s66                                      // 000000015F30: BF0A4252
	s_cselect_b32 s20, s36, s60                                // 000000015F34: 85143C24
	v_readlane_b32 s82, v3, 33                                 // 000000015F38: D2890052 00014303
	s_and_b32 s82, s82, 0xffffff                               // 000000015F40: 8652FF52 00FFFFFF
	s_cmp_lt_u32 s82, s66                                      // 000000015F48: BF0A4252
	s_cselect_b32 s21, s36, s60                                // 000000015F4C: 85153C24
	s_mov_b64 exec, s[20:21]                                   // 000000015F50: BEFE0114
	global_atomic_add_f32 v6, v152, s[8:9]                     // 000000015F54: DD348000 00089806
	global_atomic_add_f32 v6, v156, s[8:9] offset:256          // 000000015F5C: DD348100 00089C06
	s_mov_b64 exec, s[36:37]                                   // 000000015F64: BEFE0124
	v_mov_b32_e32 v6, v83                                      // 000000015F68: 7E0C0353
	s_mov_b64 s[60:61], 0                                      // 000000015F6C: BEBC0180
	v_readlane_b32 s82, v3, 34                                 // 000000015F70: D2890052 00014503
	s_and_b32 s82, s82, 0xffffff                               // 000000015F78: 8652FF52 00FFFFFF
	s_cmp_lt_u32 s82, s66                                      // 000000015F80: BF0A4252
	s_cselect_b32 s20, s36, s60                                // 000000015F84: 85143C24
	v_readlane_b32 s82, v3, 35                                 // 000000015F88: D2890052 00014703
	s_and_b32 s82, s82, 0xffffff                               // 000000015F90: 8652FF52 00FFFFFF
	s_cmp_lt_u32 s82, s66                                      // 000000015F98: BF0A4252
	s_cselect_b32 s21, s36, s60                                // 000000015F9C: 85153C24
	s_mov_b64 exec, s[20:21]                                   // 000000015FA0: BEFE0114
	global_atomic_add_f32 v6, v153, s[8:9]                     // 000000015FA4: DD348000 00089906
	global_atomic_add_f32 v6, v157, s[8:9] offset:256          // 000000015FAC: DD348100 00089D06
	s_mov_b64 exec, s[36:37]                                   // 000000015FB4: BEFE0124
	ds_write_b64 v20, v[90:91]                                 // 000000015FB8: D89A0000 00005A14
	ds_write_b64 v20, v[94:95] offset:4352                     // 000000015FC0: D89A1100 00005E14
	ds_write_b64 v20, v[98:99] offset:8704                     // 000000015FC8: D89A2200 00006214
	ds_write_b64 v20, v[102:103] offset:13056                  // 000000015FD0: D89A3300 00006614
	ds_write_b64 v20, v[106:107] offset:17408                  // 000000015FD8: D89A4400 00006A14
	ds_write_b64 v20, v[110:111] offset:21760                  // 000000015FE0: D89A5500 00006E14
	ds_write_b64 v20, v[114:115] offset:26112                  // 000000015FE8: D89A6600 00007214
	ds_write_b64 v20, v[118:119] offset:30464                  // 000000015FF0: D89A7700 00007614
	ds_write_b64 v20, v[122:123] offset:34816                  // 000000015FF8: D89A8800 00007A14
	ds_write_b64 v20, v[126:127] offset:2176                   // 000000016000: D89A0880 00007E14
	ds_write_b64 v20, v[130:131] offset:6528                   // 000000016008: D89A1980 00008214
	ds_write_b64 v20, v[134:135] offset:10880                  // 000000016010: D89A2A80 00008614
	ds_write_b64 v20, v[138:139] offset:15232                  // 000000016018: D89A3B80 00008A14
	ds_write_b64 v20, v[142:143] offset:19584                  // 000000016020: D89A4C80 00008E14
	ds_write_b64 v20, v[146:147] offset:23936                  // 000000016028: D89A5D80 00009214
	ds_write_b64 v20, v[150:151] offset:28288                  // 000000016030: D89A6E80 00009614
	ds_write_b64 v20, v[154:155] offset:32640                  // 000000016038: D89A7F80 00009A14
	ds_write_b64 v20, v[158:159] offset:36992                  // 000000016040: D89A9080 00009E14
	s_waitcnt lgkmcnt(0)                                       // 000000016048: BF8CC07F
	s_barrier                                                  // 00000001604C: BF8A0000
	ds_read_b32 v90, v21                                       // 000000016050: D86C0000 5A000015
	ds_read_b32 v91, v21 offset:64                             // 000000016058: D86C0040 5B000015
	ds_read_b32 v94, v21 offset:2176                           // 000000016060: D86C0880 5E000015
	ds_read_b32 v95, v21 offset:2240                           // 000000016068: D86C08C0 5F000015
	ds_read_b32 v98, v21 offset:4352                           // 000000016070: D86C1100 62000015
	ds_read_b32 v99, v21 offset:4416                           // 000000016078: D86C1140 63000015
	ds_read_b32 v102, v21 offset:6528                          // 000000016080: D86C1980 66000015
	ds_read_b32 v103, v21 offset:6592                          // 000000016088: D86C19C0 67000015
	ds_read_b32 v106, v21 offset:8704                          // 000000016090: D86C2200 6A000015
	ds_read_b32 v107, v21 offset:8768                          // 000000016098: D86C2240 6B000015
	ds_read_b32 v110, v21 offset:10880                         // 0000000160A0: D86C2A80 6E000015
	ds_read_b32 v111, v21 offset:10944                         // 0000000160A8: D86C2AC0 6F000015
	ds_read_b32 v114, v21 offset:13056                         // 0000000160B0: D86C3300 72000015
	ds_read_b32 v115, v21 offset:13120                         // 0000000160B8: D86C3340 73000015
	ds_read_b32 v118, v21 offset:15232                         // 0000000160C0: D86C3B80 76000015
	ds_read_b32 v119, v21 offset:15296                         // 0000000160C8: D86C3BC0 77000015
	ds_read_b32 v122, v21 offset:17408                         // 0000000160D0: D86C4400 7A000015
	ds_read_b32 v123, v21 offset:17472                         // 0000000160D8: D86C4440 7B000015
	ds_read_b32 v126, v21 offset:19584                         // 0000000160E0: D86C4C80 7E000015
	ds_read_b32 v127, v21 offset:19648                         // 0000000160E8: D86C4CC0 7F000015
	ds_read_b32 v130, v21 offset:21760                         // 0000000160F0: D86C5500 82000015
	ds_read_b32 v131, v21 offset:21824                         // 0000000160F8: D86C5540 83000015
	ds_read_b32 v134, v21 offset:23936                         // 000000016100: D86C5D80 86000015
	ds_read_b32 v135, v21 offset:24000                         // 000000016108: D86C5DC0 87000015
	ds_read_b32 v138, v21 offset:26112                         // 000000016110: D86C6600 8A000015
	ds_read_b32 v139, v21 offset:26176                         // 000000016118: D86C6640 8B000015
	ds_read_b32 v142, v21 offset:28288                         // 000000016120: D86C6E80 8E000015
	ds_read_b32 v143, v21 offset:28352                         // 000000016128: D86C6EC0 8F000015
	ds_read_b32 v146, v21 offset:30464                         // 000000016130: D86C7700 92000015
	ds_read_b32 v147, v21 offset:30528                         // 000000016138: D86C7740 93000015
	ds_read_b32 v150, v21 offset:32640                         // 000000016140: D86C7F80 96000015
	ds_read_b32 v151, v21 offset:32704                         // 000000016148: D86C7FC0 97000015
	ds_read_b32 v154, v21 offset:34816                         // 000000016150: D86C8800 9A000015
	ds_read_b32 v155, v21 offset:34880                         // 000000016158: D86C8840 9B000015
	ds_read_b32 v158, v21 offset:36992                         // 000000016160: D86C9080 9E000015
	ds_read_b32 v159, v21 offset:37056                         // 000000016168: D86C90C0 9F000015
	s_waitcnt lgkmcnt(0)                                       // 000000016170: BF8CC07F
	v_mov_b32_e32 v7, 0                                        // 000000016174: 7E0E0280
	s_mov_b64 exec, s[36:37]                                   // 000000016178: BEFE0124
	v_mov_b32_e32 v6, v66                                      // 00000001617C: 7E0C0342
	s_mov_b64 s[60:61], 0                                      // 000000016180: BEBC0180
	v_readlane_b32 s82, v3, 0                                  // 000000016184: D2890052 00010103
	s_and_b32 s82, s82, 0xffffff                               // 00000001618C: 8652FF52 00FFFFFF
	s_cmp_lt_u32 s82, s66                                      // 000000016194: BF0A4252
	s_cselect_b32 s20, s36, s60                                // 000000016198: 85143C24
	v_readlane_b32 s82, v3, 1                                  // 00000001619C: D2890052 00010303
	s_and_b32 s82, s82, 0xffffff                               // 0000000161A4: 8652FF52 00FFFFFF
	s_cmp_lt_u32 s82, s66                                      // 0000000161AC: BF0A4252
	s_cselect_b32 s21, s36, s60                                // 0000000161B0: 85153C24
	s_mov_b64 exec, s[20:21]                                   // 0000000161B4: BEFE0114
	global_atomic_add_f32 v6, v90, s[8:9] offset:8             // 0000000161B8: DD348008 00085A06
	global_atomic_add_f32 v6, v94, s[8:9] offset:264           // 0000000161C0: DD348108 00085E06
	s_mov_b64 exec, s[36:37]                                   // 0000000161C8: BEFE0124
	v_mov_b32_e32 v6, v67                                      // 0000000161CC: 7E0C0343
	s_mov_b64 s[60:61], 0                                      // 0000000161D0: BEBC0180
	v_readlane_b32 s82, v3, 2                                  // 0000000161D4: D2890052 00010503
	s_and_b32 s82, s82, 0xffffff                               // 0000000161DC: 8652FF52 00FFFFFF
	s_cmp_lt_u32 s82, s66                                      // 0000000161E4: BF0A4252
	s_cselect_b32 s20, s36, s60                                // 0000000161E8: 85143C24
	v_readlane_b32 s82, v3, 3                                  // 0000000161EC: D2890052 00010703
	s_and_b32 s82, s82, 0xffffff                               // 0000000161F4: 8652FF52 00FFFFFF
	s_cmp_lt_u32 s82, s66                                      // 0000000161FC: BF0A4252
	s_cselect_b32 s21, s36, s60                                // 000000016200: 85153C24
	s_mov_b64 exec, s[20:21]                                   // 000000016204: BEFE0114
	global_atomic_add_f32 v6, v91, s[8:9] offset:8             // 000000016208: DD348008 00085B06
	global_atomic_add_f32 v6, v95, s[8:9] offset:264           // 000000016210: DD348108 00085F06
	s_mov_b64 exec, s[36:37]                                   // 000000016218: BEFE0124
	v_mov_b32_e32 v6, v68                                      // 00000001621C: 7E0C0344
	s_mov_b64 s[60:61], 0                                      // 000000016220: BEBC0180
	v_readlane_b32 s82, v3, 4                                  // 000000016224: D2890052 00010903
	s_and_b32 s82, s82, 0xffffff                               // 00000001622C: 8652FF52 00FFFFFF
	s_cmp_lt_u32 s82, s66                                      // 000000016234: BF0A4252
	s_cselect_b32 s20, s36, s60                                // 000000016238: 85143C24
	v_readlane_b32 s82, v3, 5                                  // 00000001623C: D2890052 00010B03
	s_and_b32 s82, s82, 0xffffff                               // 000000016244: 8652FF52 00FFFFFF
	s_cmp_lt_u32 s82, s66                                      // 00000001624C: BF0A4252
	s_cselect_b32 s21, s36, s60                                // 000000016250: 85153C24
	s_mov_b64 exec, s[20:21]                                   // 000000016254: BEFE0114
	global_atomic_add_f32 v6, v98, s[8:9] offset:8             // 000000016258: DD348008 00086206
	global_atomic_add_f32 v6, v102, s[8:9] offset:264          // 000000016260: DD348108 00086606
	s_mov_b64 exec, s[36:37]                                   // 000000016268: BEFE0124
	v_mov_b32_e32 v6, v69                                      // 00000001626C: 7E0C0345
	s_mov_b64 s[60:61], 0                                      // 000000016270: BEBC0180
	v_readlane_b32 s82, v3, 6                                  // 000000016274: D2890052 00010D03
	s_and_b32 s82, s82, 0xffffff                               // 00000001627C: 8652FF52 00FFFFFF
	s_cmp_lt_u32 s82, s66                                      // 000000016284: BF0A4252
	s_cselect_b32 s20, s36, s60                                // 000000016288: 85143C24
	v_readlane_b32 s82, v3, 7                                  // 00000001628C: D2890052 00010F03
	s_and_b32 s82, s82, 0xffffff                               // 000000016294: 8652FF52 00FFFFFF
	s_cmp_lt_u32 s82, s66                                      // 00000001629C: BF0A4252
	s_cselect_b32 s21, s36, s60                                // 0000000162A0: 85153C24
	s_mov_b64 exec, s[20:21]                                   // 0000000162A4: BEFE0114
	global_atomic_add_f32 v6, v99, s[8:9] offset:8             // 0000000162A8: DD348008 00086306
	global_atomic_add_f32 v6, v103, s[8:9] offset:264          // 0000000162B0: DD348108 00086706
	s_mov_b64 exec, s[36:37]                                   // 0000000162B8: BEFE0124
	v_mov_b32_e32 v6, v70                                      // 0000000162BC: 7E0C0346
	s_mov_b64 s[60:61], 0                                      // 0000000162C0: BEBC0180
	v_readlane_b32 s82, v3, 8                                  // 0000000162C4: D2890052 00011103
	s_and_b32 s82, s82, 0xffffff                               // 0000000162CC: 8652FF52 00FFFFFF
	s_cmp_lt_u32 s82, s66                                      // 0000000162D4: BF0A4252
	s_cselect_b32 s20, s36, s60                                // 0000000162D8: 85143C24
	v_readlane_b32 s82, v3, 9                                  // 0000000162DC: D2890052 00011303
	s_and_b32 s82, s82, 0xffffff                               // 0000000162E4: 8652FF52 00FFFFFF
	s_cmp_lt_u32 s82, s66                                      // 0000000162EC: BF0A4252
	s_cselect_b32 s21, s36, s60                                // 0000000162F0: 85153C24
	s_mov_b64 exec, s[20:21]                                   // 0000000162F4: BEFE0114
	global_atomic_add_f32 v6, v106, s[8:9] offset:8            // 0000000162F8: DD348008 00086A06
	global_atomic_add_f32 v6, v110, s[8:9] offset:264          // 000000016300: DD348108 00086E06
	s_mov_b64 exec, s[36:37]                                   // 000000016308: BEFE0124
	v_mov_b32_e32 v6, v71                                      // 00000001630C: 7E0C0347
	s_mov_b64 s[60:61], 0                                      // 000000016310: BEBC0180
	v_readlane_b32 s82, v3, 10                                 // 000000016314: D2890052 00011503
	s_and_b32 s82, s82, 0xffffff                               // 00000001631C: 8652FF52 00FFFFFF
	s_cmp_lt_u32 s82, s66                                      // 000000016324: BF0A4252
	s_cselect_b32 s20, s36, s60                                // 000000016328: 85143C24
	v_readlane_b32 s82, v3, 11                                 // 00000001632C: D2890052 00011703
	s_and_b32 s82, s82, 0xffffff                               // 000000016334: 8652FF52 00FFFFFF
	s_cmp_lt_u32 s82, s66                                      // 00000001633C: BF0A4252
	s_cselect_b32 s21, s36, s60                                // 000000016340: 85153C24
	s_mov_b64 exec, s[20:21]                                   // 000000016344: BEFE0114
	global_atomic_add_f32 v6, v107, s[8:9] offset:8            // 000000016348: DD348008 00086B06
	global_atomic_add_f32 v6, v111, s[8:9] offset:264          // 000000016350: DD348108 00086F06
	s_mov_b64 exec, s[36:37]                                   // 000000016358: BEFE0124
	v_mov_b32_e32 v6, v72                                      // 00000001635C: 7E0C0348
	s_mov_b64 s[60:61], 0                                      // 000000016360: BEBC0180
	v_readlane_b32 s82, v3, 12                                 // 000000016364: D2890052 00011903
	s_and_b32 s82, s82, 0xffffff                               // 00000001636C: 8652FF52 00FFFFFF
	s_cmp_lt_u32 s82, s66                                      // 000000016374: BF0A4252
	s_cselect_b32 s20, s36, s60                                // 000000016378: 85143C24
	v_readlane_b32 s82, v3, 13                                 // 00000001637C: D2890052 00011B03
	s_and_b32 s82, s82, 0xffffff                               // 000000016384: 8652FF52 00FFFFFF
	s_cmp_lt_u32 s82, s66                                      // 00000001638C: BF0A4252
	s_cselect_b32 s21, s36, s60                                // 000000016390: 85153C24
	s_mov_b64 exec, s[20:21]                                   // 000000016394: BEFE0114
	global_atomic_add_f32 v6, v114, s[8:9] offset:8            // 000000016398: DD348008 00087206
	global_atomic_add_f32 v6, v118, s[8:9] offset:264          // 0000000163A0: DD348108 00087606
	s_mov_b64 exec, s[36:37]                                   // 0000000163A8: BEFE0124
	v_mov_b32_e32 v6, v73                                      // 0000000163AC: 7E0C0349
	s_mov_b64 s[60:61], 0                                      // 0000000163B0: BEBC0180
	v_readlane_b32 s82, v3, 14                                 // 0000000163B4: D2890052 00011D03
	s_and_b32 s82, s82, 0xffffff                               // 0000000163BC: 8652FF52 00FFFFFF
	s_cmp_lt_u32 s82, s66                                      // 0000000163C4: BF0A4252
	s_cselect_b32 s20, s36, s60                                // 0000000163C8: 85143C24
	v_readlane_b32 s82, v3, 15                                 // 0000000163CC: D2890052 00011F03
	s_and_b32 s82, s82, 0xffffff                               // 0000000163D4: 8652FF52 00FFFFFF
	s_cmp_lt_u32 s82, s66                                      // 0000000163DC: BF0A4252
	s_cselect_b32 s21, s36, s60                                // 0000000163E0: 85153C24
	s_mov_b64 exec, s[20:21]                                   // 0000000163E4: BEFE0114
	global_atomic_add_f32 v6, v115, s[8:9] offset:8            // 0000000163E8: DD348008 00087306
	global_atomic_add_f32 v6, v119, s[8:9] offset:264          // 0000000163F0: DD348108 00087706
	s_mov_b64 exec, s[36:37]                                   // 0000000163F8: BEFE0124
	v_mov_b32_e32 v6, v74                                      // 0000000163FC: 7E0C034A
	s_mov_b64 s[60:61], 0                                      // 000000016400: BEBC0180
	v_readlane_b32 s82, v3, 16                                 // 000000016404: D2890052 00012103
	s_and_b32 s82, s82, 0xffffff                               // 00000001640C: 8652FF52 00FFFFFF
	s_cmp_lt_u32 s82, s66                                      // 000000016414: BF0A4252
	s_cselect_b32 s20, s36, s60                                // 000000016418: 85143C24
	v_readlane_b32 s82, v3, 17                                 // 00000001641C: D2890052 00012303
	s_and_b32 s82, s82, 0xffffff                               // 000000016424: 8652FF52 00FFFFFF
	s_cmp_lt_u32 s82, s66                                      // 00000001642C: BF0A4252
	s_cselect_b32 s21, s36, s60                                // 000000016430: 85153C24
	s_mov_b64 exec, s[20:21]                                   // 000000016434: BEFE0114
	global_atomic_add_f32 v6, v122, s[8:9] offset:8            // 000000016438: DD348008 00087A06
	global_atomic_add_f32 v6, v126, s[8:9] offset:264          // 000000016440: DD348108 00087E06
	s_mov_b64 exec, s[36:37]                                   // 000000016448: BEFE0124
	v_mov_b32_e32 v6, v75                                      // 00000001644C: 7E0C034B
	s_mov_b64 s[60:61], 0                                      // 000000016450: BEBC0180
	v_readlane_b32 s82, v3, 18                                 // 000000016454: D2890052 00012503
	s_and_b32 s82, s82, 0xffffff                               // 00000001645C: 8652FF52 00FFFFFF
	s_cmp_lt_u32 s82, s66                                      // 000000016464: BF0A4252
	s_cselect_b32 s20, s36, s60                                // 000000016468: 85143C24
	v_readlane_b32 s82, v3, 19                                 // 00000001646C: D2890052 00012703
	s_and_b32 s82, s82, 0xffffff                               // 000000016474: 8652FF52 00FFFFFF
	s_cmp_lt_u32 s82, s66                                      // 00000001647C: BF0A4252
	s_cselect_b32 s21, s36, s60                                // 000000016480: 85153C24
	s_mov_b64 exec, s[20:21]                                   // 000000016484: BEFE0114
	global_atomic_add_f32 v6, v123, s[8:9] offset:8            // 000000016488: DD348008 00087B06
	global_atomic_add_f32 v6, v127, s[8:9] offset:264          // 000000016490: DD348108 00087F06
	s_mov_b64 exec, s[36:37]                                   // 000000016498: BEFE0124
	v_mov_b32_e32 v6, v76                                      // 00000001649C: 7E0C034C
	s_mov_b64 s[60:61], 0                                      // 0000000164A0: BEBC0180
	v_readlane_b32 s82, v3, 20                                 // 0000000164A4: D2890052 00012903
	s_and_b32 s82, s82, 0xffffff                               // 0000000164AC: 8652FF52 00FFFFFF
	s_cmp_lt_u32 s82, s66                                      // 0000000164B4: BF0A4252
	s_cselect_b32 s20, s36, s60                                // 0000000164B8: 85143C24
	v_readlane_b32 s82, v3, 21                                 // 0000000164BC: D2890052 00012B03
	s_and_b32 s82, s82, 0xffffff                               // 0000000164C4: 8652FF52 00FFFFFF
	s_cmp_lt_u32 s82, s66                                      // 0000000164CC: BF0A4252
	s_cselect_b32 s21, s36, s60                                // 0000000164D0: 85153C24
	s_mov_b64 exec, s[20:21]                                   // 0000000164D4: BEFE0114
	global_atomic_add_f32 v6, v130, s[8:9] offset:8            // 0000000164D8: DD348008 00088206
	global_atomic_add_f32 v6, v134, s[8:9] offset:264          // 0000000164E0: DD348108 00088606
	s_mov_b64 exec, s[36:37]                                   // 0000000164E8: BEFE0124
	v_mov_b32_e32 v6, v77                                      // 0000000164EC: 7E0C034D
	s_mov_b64 s[60:61], 0                                      // 0000000164F0: BEBC0180
	v_readlane_b32 s82, v3, 22                                 // 0000000164F4: D2890052 00012D03
	s_and_b32 s82, s82, 0xffffff                               // 0000000164FC: 8652FF52 00FFFFFF
	s_cmp_lt_u32 s82, s66                                      // 000000016504: BF0A4252
	s_cselect_b32 s20, s36, s60                                // 000000016508: 85143C24
	v_readlane_b32 s82, v3, 23                                 // 00000001650C: D2890052 00012F03
	s_and_b32 s82, s82, 0xffffff                               // 000000016514: 8652FF52 00FFFFFF
	s_cmp_lt_u32 s82, s66                                      // 00000001651C: BF0A4252
	s_cselect_b32 s21, s36, s60                                // 000000016520: 85153C24
	s_mov_b64 exec, s[20:21]                                   // 000000016524: BEFE0114
	global_atomic_add_f32 v6, v131, s[8:9] offset:8            // 000000016528: DD348008 00088306
	global_atomic_add_f32 v6, v135, s[8:9] offset:264          // 000000016530: DD348108 00088706
	s_mov_b64 exec, s[36:37]                                   // 000000016538: BEFE0124
	v_mov_b32_e32 v6, v78                                      // 00000001653C: 7E0C034E
	s_mov_b64 s[60:61], 0                                      // 000000016540: BEBC0180
	v_readlane_b32 s82, v3, 24                                 // 000000016544: D2890052 00013103
	s_and_b32 s82, s82, 0xffffff                               // 00000001654C: 8652FF52 00FFFFFF
	s_cmp_lt_u32 s82, s66                                      // 000000016554: BF0A4252
	s_cselect_b32 s20, s36, s60                                // 000000016558: 85143C24
	v_readlane_b32 s82, v3, 25                                 // 00000001655C: D2890052 00013303
	s_and_b32 s82, s82, 0xffffff                               // 000000016564: 8652FF52 00FFFFFF
	s_cmp_lt_u32 s82, s66                                      // 00000001656C: BF0A4252
	s_cselect_b32 s21, s36, s60                                // 000000016570: 85153C24
	s_mov_b64 exec, s[20:21]                                   // 000000016574: BEFE0114
	global_atomic_add_f32 v6, v138, s[8:9] offset:8            // 000000016578: DD348008 00088A06
	global_atomic_add_f32 v6, v142, s[8:9] offset:264          // 000000016580: DD348108 00088E06
	s_mov_b64 exec, s[36:37]                                   // 000000016588: BEFE0124
	v_mov_b32_e32 v6, v79                                      // 00000001658C: 7E0C034F
	s_mov_b64 s[60:61], 0                                      // 000000016590: BEBC0180
	v_readlane_b32 s82, v3, 26                                 // 000000016594: D2890052 00013503
	s_and_b32 s82, s82, 0xffffff                               // 00000001659C: 8652FF52 00FFFFFF
	s_cmp_lt_u32 s82, s66                                      // 0000000165A4: BF0A4252
	s_cselect_b32 s20, s36, s60                                // 0000000165A8: 85143C24
	v_readlane_b32 s82, v3, 27                                 // 0000000165AC: D2890052 00013703
	s_and_b32 s82, s82, 0xffffff                               // 0000000165B4: 8652FF52 00FFFFFF
	s_cmp_lt_u32 s82, s66                                      // 0000000165BC: BF0A4252
	s_cselect_b32 s21, s36, s60                                // 0000000165C0: 85153C24
	s_mov_b64 exec, s[20:21]                                   // 0000000165C4: BEFE0114
	global_atomic_add_f32 v6, v139, s[8:9] offset:8            // 0000000165C8: DD348008 00088B06
	global_atomic_add_f32 v6, v143, s[8:9] offset:264          // 0000000165D0: DD348108 00088F06
	s_mov_b64 exec, s[36:37]                                   // 0000000165D8: BEFE0124
	v_mov_b32_e32 v6, v80                                      // 0000000165DC: 7E0C0350
	s_mov_b64 s[60:61], 0                                      // 0000000165E0: BEBC0180
	v_readlane_b32 s82, v3, 28                                 // 0000000165E4: D2890052 00013903
	s_and_b32 s82, s82, 0xffffff                               // 0000000165EC: 8652FF52 00FFFFFF
	s_cmp_lt_u32 s82, s66                                      // 0000000165F4: BF0A4252
	s_cselect_b32 s20, s36, s60                                // 0000000165F8: 85143C24
	v_readlane_b32 s82, v3, 29                                 // 0000000165FC: D2890052 00013B03
	s_and_b32 s82, s82, 0xffffff                               // 000000016604: 8652FF52 00FFFFFF
	s_cmp_lt_u32 s82, s66                                      // 00000001660C: BF0A4252
	s_cselect_b32 s21, s36, s60                                // 000000016610: 85153C24
	s_mov_b64 exec, s[20:21]                                   // 000000016614: BEFE0114
	global_atomic_add_f32 v6, v146, s[8:9] offset:8            // 000000016618: DD348008 00089206
	global_atomic_add_f32 v6, v150, s[8:9] offset:264          // 000000016620: DD348108 00089606
	s_mov_b64 exec, s[36:37]                                   // 000000016628: BEFE0124
	v_mov_b32_e32 v6, v81                                      // 00000001662C: 7E0C0351
	s_mov_b64 s[60:61], 0                                      // 000000016630: BEBC0180
	v_readlane_b32 s82, v3, 30                                 // 000000016634: D2890052 00013D03
	s_and_b32 s82, s82, 0xffffff                               // 00000001663C: 8652FF52 00FFFFFF
	s_cmp_lt_u32 s82, s66                                      // 000000016644: BF0A4252
	s_cselect_b32 s20, s36, s60                                // 000000016648: 85143C24
	v_readlane_b32 s82, v3, 31                                 // 00000001664C: D2890052 00013F03
	s_and_b32 s82, s82, 0xffffff                               // 000000016654: 8652FF52 00FFFFFF
	s_cmp_lt_u32 s82, s66                                      // 00000001665C: BF0A4252
	s_cselect_b32 s21, s36, s60                                // 000000016660: 85153C24
	s_mov_b64 exec, s[20:21]                                   // 000000016664: BEFE0114
	global_atomic_add_f32 v6, v147, s[8:9] offset:8            // 000000016668: DD348008 00089306
	global_atomic_add_f32 v6, v151, s[8:9] offset:264          // 000000016670: DD348108 00089706
	s_mov_b64 exec, s[36:37]                                   // 000000016678: BEFE0124
	v_mov_b32_e32 v6, v82                                      // 00000001667C: 7E0C0352
	s_mov_b64 s[60:61], 0                                      // 000000016680: BEBC0180
	v_readlane_b32 s82, v3, 32                                 // 000000016684: D2890052 00014103
	s_and_b32 s82, s82, 0xffffff                               // 00000001668C: 8652FF52 00FFFFFF
	s_cmp_lt_u32 s82, s66                                      // 000000016694: BF0A4252
	s_cselect_b32 s20, s36, s60                                // 000000016698: 85143C24
	v_readlane_b32 s82, v3, 33                                 // 00000001669C: D2890052 00014303
	s_and_b32 s82, s82, 0xffffff                               // 0000000166A4: 8652FF52 00FFFFFF
	s_cmp_lt_u32 s82, s66                                      // 0000000166AC: BF0A4252
	s_cselect_b32 s21, s36, s60                                // 0000000166B0: 85153C24
	s_mov_b64 exec, s[20:21]                                   // 0000000166B4: BEFE0114
	global_atomic_add_f32 v6, v154, s[8:9] offset:8            // 0000000166B8: DD348008 00089A06
	global_atomic_add_f32 v6, v158, s[8:9] offset:264          // 0000000166C0: DD348108 00089E06
	s_mov_b64 exec, s[36:37]                                   // 0000000166C8: BEFE0124
	v_mov_b32_e32 v6, v83                                      // 0000000166CC: 7E0C0353
	s_mov_b64 s[60:61], 0                                      // 0000000166D0: BEBC0180
	v_readlane_b32 s82, v3, 34                                 // 0000000166D4: D2890052 00014503
	s_and_b32 s82, s82, 0xffffff                               // 0000000166DC: 8652FF52 00FFFFFF
	s_cmp_lt_u32 s82, s66                                      // 0000000166E4: BF0A4252
	s_cselect_b32 s20, s36, s60                                // 0000000166E8: 85143C24
	v_readlane_b32 s82, v3, 35                                 // 0000000166EC: D2890052 00014703
	s_and_b32 s82, s82, 0xffffff                               // 0000000166F4: 8652FF52 00FFFFFF
	s_cmp_lt_u32 s82, s66                                      // 0000000166FC: BF0A4252
	s_cselect_b32 s21, s36, s60                                // 000000016700: 85153C24
	s_mov_b64 exec, s[20:21]                                   // 000000016704: BEFE0114
	global_atomic_add_f32 v6, v155, s[8:9] offset:8            // 000000016708: DD348008 00089B06
	global_atomic_add_f32 v6, v159, s[8:9] offset:264          // 000000016710: DD348108 00089F06
	s_mov_b64 exec, s[36:37]                                   // 000000016718: BEFE0124
	ds_write_b64 v20, v[160:161]                               // 00000001671C: D89A0000 0000A014
	ds_write_b64 v20, v[164:165] offset:4352                   // 000000016724: D89A1100 0000A414
	ds_write_b64 v20, v[168:169] offset:8704                   // 00000001672C: D89A2200 0000A814
	ds_write_b64 v20, v[172:173] offset:13056                  // 000000016734: D89A3300 0000AC14
	ds_write_b64 v20, v[176:177] offset:17408                  // 00000001673C: D89A4400 0000B014
	ds_write_b64 v20, v[180:181] offset:21760                  // 000000016744: D89A5500 0000B414
	ds_write_b64 v20, v[184:185] offset:26112                  // 00000001674C: D89A6600 0000B814
	ds_write_b64 v20, v[188:189] offset:30464                  // 000000016754: D89A7700 0000BC14
	ds_write_b64 v20, v[192:193] offset:34816                  // 00000001675C: D89A8800 0000C014
	ds_write_b64 v20, v[196:197] offset:2176                   // 000000016764: D89A0880 0000C414
	ds_write_b64 v20, v[200:201] offset:6528                   // 00000001676C: D89A1980 0000C814
	ds_write_b64 v20, v[204:205] offset:10880                  // 000000016774: D89A2A80 0000CC14
	ds_write_b64 v20, v[208:209] offset:15232                  // 00000001677C: D89A3B80 0000D014
	ds_write_b64 v20, v[212:213] offset:19584                  // 000000016784: D89A4C80 0000D414
	ds_write_b64 v20, v[216:217] offset:23936                  // 00000001678C: D89A5D80 0000D814
	ds_write_b64 v20, v[220:221] offset:28288                  // 000000016794: D89A6E80 0000DC14
	ds_write_b64 v20, v[224:225] offset:32640                  // 00000001679C: D89A7F80 0000E014
	ds_write_b64 v20, v[228:229] offset:36992                  // 0000000167A4: D89A9080 0000E414
	s_waitcnt lgkmcnt(0)                                       // 0000000167AC: BF8CC07F
	s_barrier                                                  // 0000000167B0: BF8A0000
	ds_read_b32 v160, v21                                      // 0000000167B4: D86C0000 A0000015
	ds_read_b32 v161, v21 offset:64                            // 0000000167BC: D86C0040 A1000015
	ds_read_b32 v164, v21 offset:2176                          // 0000000167C4: D86C0880 A4000015
	ds_read_b32 v165, v21 offset:2240                          // 0000000167CC: D86C08C0 A5000015
	ds_read_b32 v168, v21 offset:4352                          // 0000000167D4: D86C1100 A8000015
	ds_read_b32 v169, v21 offset:4416                          // 0000000167DC: D86C1140 A9000015
	ds_read_b32 v172, v21 offset:6528                          // 0000000167E4: D86C1980 AC000015
	ds_read_b32 v173, v21 offset:6592                          // 0000000167EC: D86C19C0 AD000015
	ds_read_b32 v176, v21 offset:8704                          // 0000000167F4: D86C2200 B0000015
	ds_read_b32 v177, v21 offset:8768                          // 0000000167FC: D86C2240 B1000015
	ds_read_b32 v180, v21 offset:10880                         // 000000016804: D86C2A80 B4000015
	ds_read_b32 v181, v21 offset:10944                         // 00000001680C: D86C2AC0 B5000015
	ds_read_b32 v184, v21 offset:13056                         // 000000016814: D86C3300 B8000015
	ds_read_b32 v185, v21 offset:13120                         // 00000001681C: D86C3340 B9000015
	ds_read_b32 v188, v21 offset:15232                         // 000000016824: D86C3B80 BC000015
	ds_read_b32 v189, v21 offset:15296                         // 00000001682C: D86C3BC0 BD000015
	ds_read_b32 v192, v21 offset:17408                         // 000000016834: D86C4400 C0000015
	ds_read_b32 v193, v21 offset:17472                         // 00000001683C: D86C4440 C1000015
	ds_read_b32 v196, v21 offset:19584                         // 000000016844: D86C4C80 C4000015
	ds_read_b32 v197, v21 offset:19648                         // 00000001684C: D86C4CC0 C5000015
	ds_read_b32 v200, v21 offset:21760                         // 000000016854: D86C5500 C8000015
	ds_read_b32 v201, v21 offset:21824                         // 00000001685C: D86C5540 C9000015
	ds_read_b32 v204, v21 offset:23936                         // 000000016864: D86C5D80 CC000015
	ds_read_b32 v205, v21 offset:24000                         // 00000001686C: D86C5DC0 CD000015
	ds_read_b32 v208, v21 offset:26112                         // 000000016874: D86C6600 D0000015
	ds_read_b32 v209, v21 offset:26176                         // 00000001687C: D86C6640 D1000015
	ds_read_b32 v212, v21 offset:28288                         // 000000016884: D86C6E80 D4000015
	ds_read_b32 v213, v21 offset:28352                         // 00000001688C: D86C6EC0 D5000015
	ds_read_b32 v216, v21 offset:30464                         // 000000016894: D86C7700 D8000015
	ds_read_b32 v217, v21 offset:30528                         // 00000001689C: D86C7740 D9000015
	ds_read_b32 v220, v21 offset:32640                         // 0000000168A4: D86C7F80 DC000015
	ds_read_b32 v221, v21 offset:32704                         // 0000000168AC: D86C7FC0 DD000015
	ds_read_b32 v224, v21 offset:34816                         // 0000000168B4: D86C8800 E0000015
	ds_read_b32 v225, v21 offset:34880                         // 0000000168BC: D86C8840 E1000015
	ds_read_b32 v228, v21 offset:36992                         // 0000000168C4: D86C9080 E4000015
	ds_read_b32 v229, v21 offset:37056                         // 0000000168CC: D86C90C0 E5000015
	s_mul_i32 s60, s65, 4                                      // 0000000168D4: 923C8441
	s_add_u32 s8, s60, s8                                      // 0000000168D8: 8008083C
	s_addc_u32 s9, 0, s9                                       // 0000000168DC: 82090980
	s_waitcnt lgkmcnt(0)                                       // 0000000168E0: BF8CC07F
	v_mov_b32_e32 v7, 0                                        // 0000000168E4: 7E0E0280
	s_mov_b64 exec, s[36:37]                                   // 0000000168E8: BEFE0124
	v_mov_b32_e32 v6, v66                                      // 0000000168EC: 7E0C0342
	s_mov_b64 s[60:61], 0                                      // 0000000168F0: BEBC0180
	v_readlane_b32 s82, v3, 0                                  // 0000000168F4: D2890052 00010103
	s_and_b32 s82, s82, 0xffffff                               // 0000000168FC: 8652FF52 00FFFFFF
	s_cmp_lt_u32 s82, s66                                      // 000000016904: BF0A4252
	s_cselect_b32 s20, s36, s60                                // 000000016908: 85143C24
	v_readlane_b32 s82, v3, 1                                  // 00000001690C: D2890052 00010303
	s_and_b32 s82, s82, 0xffffff                               // 000000016914: 8652FF52 00FFFFFF
	s_cmp_lt_u32 s82, s66                                      // 00000001691C: BF0A4252
	s_cselect_b32 s21, s36, s60                                // 000000016920: 85153C24
	s_mov_b64 exec, s[20:21]                                   // 000000016924: BEFE0114
	global_atomic_add_f32 v6, v160, s[8:9]                     // 000000016928: DD348000 0008A006
	global_atomic_add_f32 v6, v164, s[8:9] offset:256          // 000000016930: DD348100 0008A406
	s_mov_b64 exec, s[36:37]                                   // 000000016938: BEFE0124
	v_mov_b32_e32 v6, v67                                      // 00000001693C: 7E0C0343
	s_mov_b64 s[60:61], 0                                      // 000000016940: BEBC0180
	v_readlane_b32 s82, v3, 2                                  // 000000016944: D2890052 00010503
	s_and_b32 s82, s82, 0xffffff                               // 00000001694C: 8652FF52 00FFFFFF
	s_cmp_lt_u32 s82, s66                                      // 000000016954: BF0A4252
	s_cselect_b32 s20, s36, s60                                // 000000016958: 85143C24
	v_readlane_b32 s82, v3, 3                                  // 00000001695C: D2890052 00010703
	s_and_b32 s82, s82, 0xffffff                               // 000000016964: 8652FF52 00FFFFFF
	s_cmp_lt_u32 s82, s66                                      // 00000001696C: BF0A4252
	s_cselect_b32 s21, s36, s60                                // 000000016970: 85153C24
	s_mov_b64 exec, s[20:21]                                   // 000000016974: BEFE0114
	global_atomic_add_f32 v6, v161, s[8:9]                     // 000000016978: DD348000 0008A106
	global_atomic_add_f32 v6, v165, s[8:9] offset:256          // 000000016980: DD348100 0008A506
	s_mov_b64 exec, s[36:37]                                   // 000000016988: BEFE0124
	v_mov_b32_e32 v6, v68                                      // 00000001698C: 7E0C0344
	s_mov_b64 s[60:61], 0                                      // 000000016990: BEBC0180
	v_readlane_b32 s82, v3, 4                                  // 000000016994: D2890052 00010903
	s_and_b32 s82, s82, 0xffffff                               // 00000001699C: 8652FF52 00FFFFFF
	s_cmp_lt_u32 s82, s66                                      // 0000000169A4: BF0A4252
	s_cselect_b32 s20, s36, s60                                // 0000000169A8: 85143C24
	v_readlane_b32 s82, v3, 5                                  // 0000000169AC: D2890052 00010B03
	s_and_b32 s82, s82, 0xffffff                               // 0000000169B4: 8652FF52 00FFFFFF
	s_cmp_lt_u32 s82, s66                                      // 0000000169BC: BF0A4252
	s_cselect_b32 s21, s36, s60                                // 0000000169C0: 85153C24
	s_mov_b64 exec, s[20:21]                                   // 0000000169C4: BEFE0114
	global_atomic_add_f32 v6, v168, s[8:9]                     // 0000000169C8: DD348000 0008A806
	global_atomic_add_f32 v6, v172, s[8:9] offset:256          // 0000000169D0: DD348100 0008AC06
	s_mov_b64 exec, s[36:37]                                   // 0000000169D8: BEFE0124
	v_mov_b32_e32 v6, v69                                      // 0000000169DC: 7E0C0345
	s_mov_b64 s[60:61], 0                                      // 0000000169E0: BEBC0180
	v_readlane_b32 s82, v3, 6                                  // 0000000169E4: D2890052 00010D03
	s_and_b32 s82, s82, 0xffffff                               // 0000000169EC: 8652FF52 00FFFFFF
	s_cmp_lt_u32 s82, s66                                      // 0000000169F4: BF0A4252
	s_cselect_b32 s20, s36, s60                                // 0000000169F8: 85143C24
	v_readlane_b32 s82, v3, 7                                  // 0000000169FC: D2890052 00010F03
	s_and_b32 s82, s82, 0xffffff                               // 000000016A04: 8652FF52 00FFFFFF
	s_cmp_lt_u32 s82, s66                                      // 000000016A0C: BF0A4252
	s_cselect_b32 s21, s36, s60                                // 000000016A10: 85153C24
	s_mov_b64 exec, s[20:21]                                   // 000000016A14: BEFE0114
	global_atomic_add_f32 v6, v169, s[8:9]                     // 000000016A18: DD348000 0008A906
	global_atomic_add_f32 v6, v173, s[8:9] offset:256          // 000000016A20: DD348100 0008AD06
	s_mov_b64 exec, s[36:37]                                   // 000000016A28: BEFE0124
	v_mov_b32_e32 v6, v70                                      // 000000016A2C: 7E0C0346
	s_mov_b64 s[60:61], 0                                      // 000000016A30: BEBC0180
	v_readlane_b32 s82, v3, 8                                  // 000000016A34: D2890052 00011103
	s_and_b32 s82, s82, 0xffffff                               // 000000016A3C: 8652FF52 00FFFFFF
	s_cmp_lt_u32 s82, s66                                      // 000000016A44: BF0A4252
	s_cselect_b32 s20, s36, s60                                // 000000016A48: 85143C24
	v_readlane_b32 s82, v3, 9                                  // 000000016A4C: D2890052 00011303
	s_and_b32 s82, s82, 0xffffff                               // 000000016A54: 8652FF52 00FFFFFF
	s_cmp_lt_u32 s82, s66                                      // 000000016A5C: BF0A4252
	s_cselect_b32 s21, s36, s60                                // 000000016A60: 85153C24
	s_mov_b64 exec, s[20:21]                                   // 000000016A64: BEFE0114
	global_atomic_add_f32 v6, v176, s[8:9]                     // 000000016A68: DD348000 0008B006
	global_atomic_add_f32 v6, v180, s[8:9] offset:256          // 000000016A70: DD348100 0008B406
	s_mov_b64 exec, s[36:37]                                   // 000000016A78: BEFE0124
	v_mov_b32_e32 v6, v71                                      // 000000016A7C: 7E0C0347
	s_mov_b64 s[60:61], 0                                      // 000000016A80: BEBC0180
	v_readlane_b32 s82, v3, 10                                 // 000000016A84: D2890052 00011503
	s_and_b32 s82, s82, 0xffffff                               // 000000016A8C: 8652FF52 00FFFFFF
	s_cmp_lt_u32 s82, s66                                      // 000000016A94: BF0A4252
	s_cselect_b32 s20, s36, s60                                // 000000016A98: 85143C24
	v_readlane_b32 s82, v3, 11                                 // 000000016A9C: D2890052 00011703
	s_and_b32 s82, s82, 0xffffff                               // 000000016AA4: 8652FF52 00FFFFFF
	s_cmp_lt_u32 s82, s66                                      // 000000016AAC: BF0A4252
	s_cselect_b32 s21, s36, s60                                // 000000016AB0: 85153C24
	s_mov_b64 exec, s[20:21]                                   // 000000016AB4: BEFE0114
	global_atomic_add_f32 v6, v177, s[8:9]                     // 000000016AB8: DD348000 0008B106
	global_atomic_add_f32 v6, v181, s[8:9] offset:256          // 000000016AC0: DD348100 0008B506
	s_mov_b64 exec, s[36:37]                                   // 000000016AC8: BEFE0124
	v_mov_b32_e32 v6, v72                                      // 000000016ACC: 7E0C0348
	s_mov_b64 s[60:61], 0                                      // 000000016AD0: BEBC0180
	v_readlane_b32 s82, v3, 12                                 // 000000016AD4: D2890052 00011903
	s_and_b32 s82, s82, 0xffffff                               // 000000016ADC: 8652FF52 00FFFFFF
	s_cmp_lt_u32 s82, s66                                      // 000000016AE4: BF0A4252
	s_cselect_b32 s20, s36, s60                                // 000000016AE8: 85143C24
	v_readlane_b32 s82, v3, 13                                 // 000000016AEC: D2890052 00011B03
	s_and_b32 s82, s82, 0xffffff                               // 000000016AF4: 8652FF52 00FFFFFF
	s_cmp_lt_u32 s82, s66                                      // 000000016AFC: BF0A4252
	s_cselect_b32 s21, s36, s60                                // 000000016B00: 85153C24
	s_mov_b64 exec, s[20:21]                                   // 000000016B04: BEFE0114
	global_atomic_add_f32 v6, v184, s[8:9]                     // 000000016B08: DD348000 0008B806
	global_atomic_add_f32 v6, v188, s[8:9] offset:256          // 000000016B10: DD348100 0008BC06
	s_mov_b64 exec, s[36:37]                                   // 000000016B18: BEFE0124
	v_mov_b32_e32 v6, v73                                      // 000000016B1C: 7E0C0349
	s_mov_b64 s[60:61], 0                                      // 000000016B20: BEBC0180
	v_readlane_b32 s82, v3, 14                                 // 000000016B24: D2890052 00011D03
	s_and_b32 s82, s82, 0xffffff                               // 000000016B2C: 8652FF52 00FFFFFF
	s_cmp_lt_u32 s82, s66                                      // 000000016B34: BF0A4252
	s_cselect_b32 s20, s36, s60                                // 000000016B38: 85143C24
	v_readlane_b32 s82, v3, 15                                 // 000000016B3C: D2890052 00011F03
	s_and_b32 s82, s82, 0xffffff                               // 000000016B44: 8652FF52 00FFFFFF
	s_cmp_lt_u32 s82, s66                                      // 000000016B4C: BF0A4252
	s_cselect_b32 s21, s36, s60                                // 000000016B50: 85153C24
	s_mov_b64 exec, s[20:21]                                   // 000000016B54: BEFE0114
	global_atomic_add_f32 v6, v185, s[8:9]                     // 000000016B58: DD348000 0008B906
	global_atomic_add_f32 v6, v189, s[8:9] offset:256          // 000000016B60: DD348100 0008BD06
	s_mov_b64 exec, s[36:37]                                   // 000000016B68: BEFE0124
	v_mov_b32_e32 v6, v74                                      // 000000016B6C: 7E0C034A
	s_mov_b64 s[60:61], 0                                      // 000000016B70: BEBC0180
	v_readlane_b32 s82, v3, 16                                 // 000000016B74: D2890052 00012103
	s_and_b32 s82, s82, 0xffffff                               // 000000016B7C: 8652FF52 00FFFFFF
	s_cmp_lt_u32 s82, s66                                      // 000000016B84: BF0A4252
	s_cselect_b32 s20, s36, s60                                // 000000016B88: 85143C24
	v_readlane_b32 s82, v3, 17                                 // 000000016B8C: D2890052 00012303
	s_and_b32 s82, s82, 0xffffff                               // 000000016B94: 8652FF52 00FFFFFF
	s_cmp_lt_u32 s82, s66                                      // 000000016B9C: BF0A4252
	s_cselect_b32 s21, s36, s60                                // 000000016BA0: 85153C24
	s_mov_b64 exec, s[20:21]                                   // 000000016BA4: BEFE0114
	global_atomic_add_f32 v6, v192, s[8:9]                     // 000000016BA8: DD348000 0008C006
	global_atomic_add_f32 v6, v196, s[8:9] offset:256          // 000000016BB0: DD348100 0008C406
	s_mov_b64 exec, s[36:37]                                   // 000000016BB8: BEFE0124
	v_mov_b32_e32 v6, v75                                      // 000000016BBC: 7E0C034B
	s_mov_b64 s[60:61], 0                                      // 000000016BC0: BEBC0180
	v_readlane_b32 s82, v3, 18                                 // 000000016BC4: D2890052 00012503
	s_and_b32 s82, s82, 0xffffff                               // 000000016BCC: 8652FF52 00FFFFFF
	s_cmp_lt_u32 s82, s66                                      // 000000016BD4: BF0A4252
	s_cselect_b32 s20, s36, s60                                // 000000016BD8: 85143C24
	v_readlane_b32 s82, v3, 19                                 // 000000016BDC: D2890052 00012703
	s_and_b32 s82, s82, 0xffffff                               // 000000016BE4: 8652FF52 00FFFFFF
	s_cmp_lt_u32 s82, s66                                      // 000000016BEC: BF0A4252
	s_cselect_b32 s21, s36, s60                                // 000000016BF0: 85153C24
	s_mov_b64 exec, s[20:21]                                   // 000000016BF4: BEFE0114
	global_atomic_add_f32 v6, v193, s[8:9]                     // 000000016BF8: DD348000 0008C106
	global_atomic_add_f32 v6, v197, s[8:9] offset:256          // 000000016C00: DD348100 0008C506
	s_mov_b64 exec, s[36:37]                                   // 000000016C08: BEFE0124
	v_mov_b32_e32 v6, v76                                      // 000000016C0C: 7E0C034C
	s_mov_b64 s[60:61], 0                                      // 000000016C10: BEBC0180
	v_readlane_b32 s82, v3, 20                                 // 000000016C14: D2890052 00012903
	s_and_b32 s82, s82, 0xffffff                               // 000000016C1C: 8652FF52 00FFFFFF
	s_cmp_lt_u32 s82, s66                                      // 000000016C24: BF0A4252
	s_cselect_b32 s20, s36, s60                                // 000000016C28: 85143C24
	v_readlane_b32 s82, v3, 21                                 // 000000016C2C: D2890052 00012B03
	s_and_b32 s82, s82, 0xffffff                               // 000000016C34: 8652FF52 00FFFFFF
	s_cmp_lt_u32 s82, s66                                      // 000000016C3C: BF0A4252
	s_cselect_b32 s21, s36, s60                                // 000000016C40: 85153C24
	s_mov_b64 exec, s[20:21]                                   // 000000016C44: BEFE0114
	global_atomic_add_f32 v6, v200, s[8:9]                     // 000000016C48: DD348000 0008C806
	global_atomic_add_f32 v6, v204, s[8:9] offset:256          // 000000016C50: DD348100 0008CC06
	s_mov_b64 exec, s[36:37]                                   // 000000016C58: BEFE0124
	v_mov_b32_e32 v6, v77                                      // 000000016C5C: 7E0C034D
	s_mov_b64 s[60:61], 0                                      // 000000016C60: BEBC0180
	v_readlane_b32 s82, v3, 22                                 // 000000016C64: D2890052 00012D03
	s_and_b32 s82, s82, 0xffffff                               // 000000016C6C: 8652FF52 00FFFFFF
	s_cmp_lt_u32 s82, s66                                      // 000000016C74: BF0A4252
	s_cselect_b32 s20, s36, s60                                // 000000016C78: 85143C24
	v_readlane_b32 s82, v3, 23                                 // 000000016C7C: D2890052 00012F03
	s_and_b32 s82, s82, 0xffffff                               // 000000016C84: 8652FF52 00FFFFFF
	s_cmp_lt_u32 s82, s66                                      // 000000016C8C: BF0A4252
	s_cselect_b32 s21, s36, s60                                // 000000016C90: 85153C24
	s_mov_b64 exec, s[20:21]                                   // 000000016C94: BEFE0114
	global_atomic_add_f32 v6, v201, s[8:9]                     // 000000016C98: DD348000 0008C906
	global_atomic_add_f32 v6, v205, s[8:9] offset:256          // 000000016CA0: DD348100 0008CD06
	s_mov_b64 exec, s[36:37]                                   // 000000016CA8: BEFE0124
	v_mov_b32_e32 v6, v78                                      // 000000016CAC: 7E0C034E
	s_mov_b64 s[60:61], 0                                      // 000000016CB0: BEBC0180
	v_readlane_b32 s82, v3, 24                                 // 000000016CB4: D2890052 00013103
	s_and_b32 s82, s82, 0xffffff                               // 000000016CBC: 8652FF52 00FFFFFF
	s_cmp_lt_u32 s82, s66                                      // 000000016CC4: BF0A4252
	s_cselect_b32 s20, s36, s60                                // 000000016CC8: 85143C24
	v_readlane_b32 s82, v3, 25                                 // 000000016CCC: D2890052 00013303
	s_and_b32 s82, s82, 0xffffff                               // 000000016CD4: 8652FF52 00FFFFFF
	s_cmp_lt_u32 s82, s66                                      // 000000016CDC: BF0A4252
	s_cselect_b32 s21, s36, s60                                // 000000016CE0: 85153C24
	s_mov_b64 exec, s[20:21]                                   // 000000016CE4: BEFE0114
	global_atomic_add_f32 v6, v208, s[8:9]                     // 000000016CE8: DD348000 0008D006
	global_atomic_add_f32 v6, v212, s[8:9] offset:256          // 000000016CF0: DD348100 0008D406
	s_mov_b64 exec, s[36:37]                                   // 000000016CF8: BEFE0124
	v_mov_b32_e32 v6, v79                                      // 000000016CFC: 7E0C034F
	s_mov_b64 s[60:61], 0                                      // 000000016D00: BEBC0180
	v_readlane_b32 s82, v3, 26                                 // 000000016D04: D2890052 00013503
	s_and_b32 s82, s82, 0xffffff                               // 000000016D0C: 8652FF52 00FFFFFF
	s_cmp_lt_u32 s82, s66                                      // 000000016D14: BF0A4252
	s_cselect_b32 s20, s36, s60                                // 000000016D18: 85143C24
	v_readlane_b32 s82, v3, 27                                 // 000000016D1C: D2890052 00013703
	s_and_b32 s82, s82, 0xffffff                               // 000000016D24: 8652FF52 00FFFFFF
	s_cmp_lt_u32 s82, s66                                      // 000000016D2C: BF0A4252
	s_cselect_b32 s21, s36, s60                                // 000000016D30: 85153C24
	s_mov_b64 exec, s[20:21]                                   // 000000016D34: BEFE0114
	global_atomic_add_f32 v6, v209, s[8:9]                     // 000000016D38: DD348000 0008D106
	global_atomic_add_f32 v6, v213, s[8:9] offset:256          // 000000016D40: DD348100 0008D506
	s_mov_b64 exec, s[36:37]                                   // 000000016D48: BEFE0124
	v_mov_b32_e32 v6, v80                                      // 000000016D4C: 7E0C0350
	s_mov_b64 s[60:61], 0                                      // 000000016D50: BEBC0180
	v_readlane_b32 s82, v3, 28                                 // 000000016D54: D2890052 00013903
	s_and_b32 s82, s82, 0xffffff                               // 000000016D5C: 8652FF52 00FFFFFF
	s_cmp_lt_u32 s82, s66                                      // 000000016D64: BF0A4252
	s_cselect_b32 s20, s36, s60                                // 000000016D68: 85143C24
	v_readlane_b32 s82, v3, 29                                 // 000000016D6C: D2890052 00013B03
	s_and_b32 s82, s82, 0xffffff                               // 000000016D74: 8652FF52 00FFFFFF
	s_cmp_lt_u32 s82, s66                                      // 000000016D7C: BF0A4252
	s_cselect_b32 s21, s36, s60                                // 000000016D80: 85153C24
	s_mov_b64 exec, s[20:21]                                   // 000000016D84: BEFE0114
	global_atomic_add_f32 v6, v216, s[8:9]                     // 000000016D88: DD348000 0008D806
	global_atomic_add_f32 v6, v220, s[8:9] offset:256          // 000000016D90: DD348100 0008DC06
	s_mov_b64 exec, s[36:37]                                   // 000000016D98: BEFE0124
	v_mov_b32_e32 v6, v81                                      // 000000016D9C: 7E0C0351
	s_mov_b64 s[60:61], 0                                      // 000000016DA0: BEBC0180
	v_readlane_b32 s82, v3, 30                                 // 000000016DA4: D2890052 00013D03
	s_and_b32 s82, s82, 0xffffff                               // 000000016DAC: 8652FF52 00FFFFFF
	s_cmp_lt_u32 s82, s66                                      // 000000016DB4: BF0A4252
	s_cselect_b32 s20, s36, s60                                // 000000016DB8: 85143C24
	v_readlane_b32 s82, v3, 31                                 // 000000016DBC: D2890052 00013F03
	s_and_b32 s82, s82, 0xffffff                               // 000000016DC4: 8652FF52 00FFFFFF
	s_cmp_lt_u32 s82, s66                                      // 000000016DCC: BF0A4252
	s_cselect_b32 s21, s36, s60                                // 000000016DD0: 85153C24
	s_mov_b64 exec, s[20:21]                                   // 000000016DD4: BEFE0114
	global_atomic_add_f32 v6, v217, s[8:9]                     // 000000016DD8: DD348000 0008D906
	global_atomic_add_f32 v6, v221, s[8:9] offset:256          // 000000016DE0: DD348100 0008DD06
	s_mov_b64 exec, s[36:37]                                   // 000000016DE8: BEFE0124
	v_mov_b32_e32 v6, v82                                      // 000000016DEC: 7E0C0352
	s_mov_b64 s[60:61], 0                                      // 000000016DF0: BEBC0180
	v_readlane_b32 s82, v3, 32                                 // 000000016DF4: D2890052 00014103
	s_and_b32 s82, s82, 0xffffff                               // 000000016DFC: 8652FF52 00FFFFFF
	s_cmp_lt_u32 s82, s66                                      // 000000016E04: BF0A4252
	s_cselect_b32 s20, s36, s60                                // 000000016E08: 85143C24
	v_readlane_b32 s82, v3, 33                                 // 000000016E0C: D2890052 00014303
	s_and_b32 s82, s82, 0xffffff                               // 000000016E14: 8652FF52 00FFFFFF
	s_cmp_lt_u32 s82, s66                                      // 000000016E1C: BF0A4252
	s_cselect_b32 s21, s36, s60                                // 000000016E20: 85153C24
	s_mov_b64 exec, s[20:21]                                   // 000000016E24: BEFE0114
	global_atomic_add_f32 v6, v224, s[8:9]                     // 000000016E28: DD348000 0008E006
	global_atomic_add_f32 v6, v228, s[8:9] offset:256          // 000000016E30: DD348100 0008E406
	s_mov_b64 exec, s[36:37]                                   // 000000016E38: BEFE0124
	v_mov_b32_e32 v6, v83                                      // 000000016E3C: 7E0C0353
	s_mov_b64 s[60:61], 0                                      // 000000016E40: BEBC0180
	v_readlane_b32 s82, v3, 34                                 // 000000016E44: D2890052 00014503
	s_and_b32 s82, s82, 0xffffff                               // 000000016E4C: 8652FF52 00FFFFFF
	s_cmp_lt_u32 s82, s66                                      // 000000016E54: BF0A4252
	s_cselect_b32 s20, s36, s60                                // 000000016E58: 85143C24
	v_readlane_b32 s82, v3, 35                                 // 000000016E5C: D2890052 00014703
	s_and_b32 s82, s82, 0xffffff                               // 000000016E64: 8652FF52 00FFFFFF
	s_cmp_lt_u32 s82, s66                                      // 000000016E6C: BF0A4252
	s_cselect_b32 s21, s36, s60                                // 000000016E70: 85153C24
	s_mov_b64 exec, s[20:21]                                   // 000000016E74: BEFE0114
	global_atomic_add_f32 v6, v225, s[8:9]                     // 000000016E78: DD348000 0008E106
	global_atomic_add_f32 v6, v229, s[8:9] offset:256          // 000000016E80: DD348100 0008E506
	s_mov_b64 exec, s[36:37]                                   // 000000016E88: BEFE0124
	ds_write_b64 v20, v[162:163]                               // 000000016E8C: D89A0000 0000A214
	ds_write_b64 v20, v[166:167] offset:4352                   // 000000016E94: D89A1100 0000A614
	ds_write_b64 v20, v[170:171] offset:8704                   // 000000016E9C: D89A2200 0000AA14
	ds_write_b64 v20, v[174:175] offset:13056                  // 000000016EA4: D89A3300 0000AE14
	ds_write_b64 v20, v[178:179] offset:17408                  // 000000016EAC: D89A4400 0000B214
	ds_write_b64 v20, v[182:183] offset:21760                  // 000000016EB4: D89A5500 0000B614
	ds_write_b64 v20, v[186:187] offset:26112                  // 000000016EBC: D89A6600 0000BA14
	ds_write_b64 v20, v[190:191] offset:30464                  // 000000016EC4: D89A7700 0000BE14
	ds_write_b64 v20, v[194:195] offset:34816                  // 000000016ECC: D89A8800 0000C214
	ds_write_b64 v20, v[198:199] offset:2176                   // 000000016ED4: D89A0880 0000C614
	ds_write_b64 v20, v[202:203] offset:6528                   // 000000016EDC: D89A1980 0000CA14
	ds_write_b64 v20, v[206:207] offset:10880                  // 000000016EE4: D89A2A80 0000CE14
	ds_write_b64 v20, v[210:211] offset:15232                  // 000000016EEC: D89A3B80 0000D214
	ds_write_b64 v20, v[214:215] offset:19584                  // 000000016EF4: D89A4C80 0000D614
	ds_write_b64 v20, v[218:219] offset:23936                  // 000000016EFC: D89A5D80 0000DA14
	ds_write_b64 v20, v[222:223] offset:28288                  // 000000016F04: D89A6E80 0000DE14
	ds_write_b64 v20, v[226:227] offset:32640                  // 000000016F0C: D89A7F80 0000E214
	ds_write_b64 v20, v[230:231] offset:36992                  // 000000016F14: D89A9080 0000E614
	s_waitcnt lgkmcnt(0)                                       // 000000016F1C: BF8CC07F
	s_barrier                                                  // 000000016F20: BF8A0000
	ds_read_b32 v162, v21                                      // 000000016F24: D86C0000 A2000015
	ds_read_b32 v163, v21 offset:64                            // 000000016F2C: D86C0040 A3000015
	ds_read_b32 v166, v21 offset:2176                          // 000000016F34: D86C0880 A6000015
	ds_read_b32 v167, v21 offset:2240                          // 000000016F3C: D86C08C0 A7000015
	ds_read_b32 v170, v21 offset:4352                          // 000000016F44: D86C1100 AA000015
	ds_read_b32 v171, v21 offset:4416                          // 000000016F4C: D86C1140 AB000015
	ds_read_b32 v174, v21 offset:6528                          // 000000016F54: D86C1980 AE000015
	ds_read_b32 v175, v21 offset:6592                          // 000000016F5C: D86C19C0 AF000015
	ds_read_b32 v178, v21 offset:8704                          // 000000016F64: D86C2200 B2000015
	ds_read_b32 v179, v21 offset:8768                          // 000000016F6C: D86C2240 B3000015
	ds_read_b32 v182, v21 offset:10880                         // 000000016F74: D86C2A80 B6000015
	ds_read_b32 v183, v21 offset:10944                         // 000000016F7C: D86C2AC0 B7000015
	ds_read_b32 v186, v21 offset:13056                         // 000000016F84: D86C3300 BA000015
	ds_read_b32 v187, v21 offset:13120                         // 000000016F8C: D86C3340 BB000015
	ds_read_b32 v190, v21 offset:15232                         // 000000016F94: D86C3B80 BE000015
	ds_read_b32 v191, v21 offset:15296                         // 000000016F9C: D86C3BC0 BF000015
	ds_read_b32 v194, v21 offset:17408                         // 000000016FA4: D86C4400 C2000015
	ds_read_b32 v195, v21 offset:17472                         // 000000016FAC: D86C4440 C3000015
	ds_read_b32 v198, v21 offset:19584                         // 000000016FB4: D86C4C80 C6000015
	ds_read_b32 v199, v21 offset:19648                         // 000000016FBC: D86C4CC0 C7000015
	ds_read_b32 v202, v21 offset:21760                         // 000000016FC4: D86C5500 CA000015
	ds_read_b32 v203, v21 offset:21824                         // 000000016FCC: D86C5540 CB000015
	ds_read_b32 v206, v21 offset:23936                         // 000000016FD4: D86C5D80 CE000015
	ds_read_b32 v207, v21 offset:24000                         // 000000016FDC: D86C5DC0 CF000015
	ds_read_b32 v210, v21 offset:26112                         // 000000016FE4: D86C6600 D2000015
	ds_read_b32 v211, v21 offset:26176                         // 000000016FEC: D86C6640 D3000015
	ds_read_b32 v214, v21 offset:28288                         // 000000016FF4: D86C6E80 D6000015
	ds_read_b32 v215, v21 offset:28352                         // 000000016FFC: D86C6EC0 D7000015
	ds_read_b32 v218, v21 offset:30464                         // 000000017004: D86C7700 DA000015
	ds_read_b32 v219, v21 offset:30528                         // 00000001700C: D86C7740 DB000015
	ds_read_b32 v222, v21 offset:32640                         // 000000017014: D86C7F80 DE000015
	ds_read_b32 v223, v21 offset:32704                         // 00000001701C: D86C7FC0 DF000015
	ds_read_b32 v226, v21 offset:34816                         // 000000017024: D86C8800 E2000015
	ds_read_b32 v227, v21 offset:34880                         // 00000001702C: D86C8840 E3000015
	ds_read_b32 v230, v21 offset:36992                         // 000000017034: D86C9080 E6000015
	ds_read_b32 v231, v21 offset:37056                         // 00000001703C: D86C90C0 E7000015
	s_waitcnt lgkmcnt(0)                                       // 000000017044: BF8CC07F
	v_mov_b32_e32 v7, 0                                        // 000000017048: 7E0E0280
	s_mov_b64 exec, s[36:37]                                   // 00000001704C: BEFE0124
	v_mov_b32_e32 v6, v66                                      // 000000017050: 7E0C0342
	s_mov_b64 s[60:61], 0                                      // 000000017054: BEBC0180
	v_readlane_b32 s82, v3, 0                                  // 000000017058: D2890052 00010103
	s_and_b32 s82, s82, 0xffffff                               // 000000017060: 8652FF52 00FFFFFF
	s_cmp_lt_u32 s82, s66                                      // 000000017068: BF0A4252
	s_cselect_b32 s20, s36, s60                                // 00000001706C: 85143C24
	v_readlane_b32 s82, v3, 1                                  // 000000017070: D2890052 00010303
	s_and_b32 s82, s82, 0xffffff                               // 000000017078: 8652FF52 00FFFFFF
	s_cmp_lt_u32 s82, s66                                      // 000000017080: BF0A4252
	s_cselect_b32 s21, s36, s60                                // 000000017084: 85153C24
	s_mov_b64 exec, s[20:21]                                   // 000000017088: BEFE0114
	global_atomic_add_f32 v6, v162, s[8:9] offset:8            // 00000001708C: DD348008 0008A206
	global_atomic_add_f32 v6, v166, s[8:9] offset:264          // 000000017094: DD348108 0008A606
	s_mov_b64 exec, s[36:37]                                   // 00000001709C: BEFE0124
	v_mov_b32_e32 v6, v67                                      // 0000000170A0: 7E0C0343
	s_mov_b64 s[60:61], 0                                      // 0000000170A4: BEBC0180
	v_readlane_b32 s82, v3, 2                                  // 0000000170A8: D2890052 00010503
	s_and_b32 s82, s82, 0xffffff                               // 0000000170B0: 8652FF52 00FFFFFF
	s_cmp_lt_u32 s82, s66                                      // 0000000170B8: BF0A4252
	s_cselect_b32 s20, s36, s60                                // 0000000170BC: 85143C24
	v_readlane_b32 s82, v3, 3                                  // 0000000170C0: D2890052 00010703
	s_and_b32 s82, s82, 0xffffff                               // 0000000170C8: 8652FF52 00FFFFFF
	s_cmp_lt_u32 s82, s66                                      // 0000000170D0: BF0A4252
	s_cselect_b32 s21, s36, s60                                // 0000000170D4: 85153C24
	s_mov_b64 exec, s[20:21]                                   // 0000000170D8: BEFE0114
	global_atomic_add_f32 v6, v163, s[8:9] offset:8            // 0000000170DC: DD348008 0008A306
	global_atomic_add_f32 v6, v167, s[8:9] offset:264          // 0000000170E4: DD348108 0008A706
	s_mov_b64 exec, s[36:37]                                   // 0000000170EC: BEFE0124
	v_mov_b32_e32 v6, v68                                      // 0000000170F0: 7E0C0344
	s_mov_b64 s[60:61], 0                                      // 0000000170F4: BEBC0180
	v_readlane_b32 s82, v3, 4                                  // 0000000170F8: D2890052 00010903
	s_and_b32 s82, s82, 0xffffff                               // 000000017100: 8652FF52 00FFFFFF
	s_cmp_lt_u32 s82, s66                                      // 000000017108: BF0A4252
	s_cselect_b32 s20, s36, s60                                // 00000001710C: 85143C24
	v_readlane_b32 s82, v3, 5                                  // 000000017110: D2890052 00010B03
	s_and_b32 s82, s82, 0xffffff                               // 000000017118: 8652FF52 00FFFFFF
	s_cmp_lt_u32 s82, s66                                      // 000000017120: BF0A4252
	s_cselect_b32 s21, s36, s60                                // 000000017124: 85153C24
	s_mov_b64 exec, s[20:21]                                   // 000000017128: BEFE0114
	global_atomic_add_f32 v6, v170, s[8:9] offset:8            // 00000001712C: DD348008 0008AA06
	global_atomic_add_f32 v6, v174, s[8:9] offset:264          // 000000017134: DD348108 0008AE06
	s_mov_b64 exec, s[36:37]                                   // 00000001713C: BEFE0124
	v_mov_b32_e32 v6, v69                                      // 000000017140: 7E0C0345
	s_mov_b64 s[60:61], 0                                      // 000000017144: BEBC0180
	v_readlane_b32 s82, v3, 6                                  // 000000017148: D2890052 00010D03
	s_and_b32 s82, s82, 0xffffff                               // 000000017150: 8652FF52 00FFFFFF
	s_cmp_lt_u32 s82, s66                                      // 000000017158: BF0A4252
	s_cselect_b32 s20, s36, s60                                // 00000001715C: 85143C24
	v_readlane_b32 s82, v3, 7                                  // 000000017160: D2890052 00010F03
	s_and_b32 s82, s82, 0xffffff                               // 000000017168: 8652FF52 00FFFFFF
	s_cmp_lt_u32 s82, s66                                      // 000000017170: BF0A4252
	s_cselect_b32 s21, s36, s60                                // 000000017174: 85153C24
	s_mov_b64 exec, s[20:21]                                   // 000000017178: BEFE0114
	global_atomic_add_f32 v6, v171, s[8:9] offset:8            // 00000001717C: DD348008 0008AB06
	global_atomic_add_f32 v6, v175, s[8:9] offset:264          // 000000017184: DD348108 0008AF06
	s_mov_b64 exec, s[36:37]                                   // 00000001718C: BEFE0124
	v_mov_b32_e32 v6, v70                                      // 000000017190: 7E0C0346
	s_mov_b64 s[60:61], 0                                      // 000000017194: BEBC0180
	v_readlane_b32 s82, v3, 8                                  // 000000017198: D2890052 00011103
	s_and_b32 s82, s82, 0xffffff                               // 0000000171A0: 8652FF52 00FFFFFF
	s_cmp_lt_u32 s82, s66                                      // 0000000171A8: BF0A4252
	s_cselect_b32 s20, s36, s60                                // 0000000171AC: 85143C24
	v_readlane_b32 s82, v3, 9                                  // 0000000171B0: D2890052 00011303
	s_and_b32 s82, s82, 0xffffff                               // 0000000171B8: 8652FF52 00FFFFFF
	s_cmp_lt_u32 s82, s66                                      // 0000000171C0: BF0A4252
	s_cselect_b32 s21, s36, s60                                // 0000000171C4: 85153C24
	s_mov_b64 exec, s[20:21]                                   // 0000000171C8: BEFE0114
	global_atomic_add_f32 v6, v178, s[8:9] offset:8            // 0000000171CC: DD348008 0008B206
	global_atomic_add_f32 v6, v182, s[8:9] offset:264          // 0000000171D4: DD348108 0008B606
	s_mov_b64 exec, s[36:37]                                   // 0000000171DC: BEFE0124
	v_mov_b32_e32 v6, v71                                      // 0000000171E0: 7E0C0347
	s_mov_b64 s[60:61], 0                                      // 0000000171E4: BEBC0180
	v_readlane_b32 s82, v3, 10                                 // 0000000171E8: D2890052 00011503
	s_and_b32 s82, s82, 0xffffff                               // 0000000171F0: 8652FF52 00FFFFFF
	s_cmp_lt_u32 s82, s66                                      // 0000000171F8: BF0A4252
	s_cselect_b32 s20, s36, s60                                // 0000000171FC: 85143C24
	v_readlane_b32 s82, v3, 11                                 // 000000017200: D2890052 00011703
	s_and_b32 s82, s82, 0xffffff                               // 000000017208: 8652FF52 00FFFFFF
	s_cmp_lt_u32 s82, s66                                      // 000000017210: BF0A4252
	s_cselect_b32 s21, s36, s60                                // 000000017214: 85153C24
	s_mov_b64 exec, s[20:21]                                   // 000000017218: BEFE0114
	global_atomic_add_f32 v6, v179, s[8:9] offset:8            // 00000001721C: DD348008 0008B306
	global_atomic_add_f32 v6, v183, s[8:9] offset:264          // 000000017224: DD348108 0008B706
	s_mov_b64 exec, s[36:37]                                   // 00000001722C: BEFE0124
	v_mov_b32_e32 v6, v72                                      // 000000017230: 7E0C0348
	s_mov_b64 s[60:61], 0                                      // 000000017234: BEBC0180
	v_readlane_b32 s82, v3, 12                                 // 000000017238: D2890052 00011903
	s_and_b32 s82, s82, 0xffffff                               // 000000017240: 8652FF52 00FFFFFF
	s_cmp_lt_u32 s82, s66                                      // 000000017248: BF0A4252
	s_cselect_b32 s20, s36, s60                                // 00000001724C: 85143C24
	v_readlane_b32 s82, v3, 13                                 // 000000017250: D2890052 00011B03
	s_and_b32 s82, s82, 0xffffff                               // 000000017258: 8652FF52 00FFFFFF
	s_cmp_lt_u32 s82, s66                                      // 000000017260: BF0A4252
	s_cselect_b32 s21, s36, s60                                // 000000017264: 85153C24
	s_mov_b64 exec, s[20:21]                                   // 000000017268: BEFE0114
	global_atomic_add_f32 v6, v186, s[8:9] offset:8            // 00000001726C: DD348008 0008BA06
	global_atomic_add_f32 v6, v190, s[8:9] offset:264          // 000000017274: DD348108 0008BE06
	s_mov_b64 exec, s[36:37]                                   // 00000001727C: BEFE0124
	v_mov_b32_e32 v6, v73                                      // 000000017280: 7E0C0349
	s_mov_b64 s[60:61], 0                                      // 000000017284: BEBC0180
	v_readlane_b32 s82, v3, 14                                 // 000000017288: D2890052 00011D03
	s_and_b32 s82, s82, 0xffffff                               // 000000017290: 8652FF52 00FFFFFF
	s_cmp_lt_u32 s82, s66                                      // 000000017298: BF0A4252
	s_cselect_b32 s20, s36, s60                                // 00000001729C: 85143C24
	v_readlane_b32 s82, v3, 15                                 // 0000000172A0: D2890052 00011F03
	s_and_b32 s82, s82, 0xffffff                               // 0000000172A8: 8652FF52 00FFFFFF
	s_cmp_lt_u32 s82, s66                                      // 0000000172B0: BF0A4252
	s_cselect_b32 s21, s36, s60                                // 0000000172B4: 85153C24
	s_mov_b64 exec, s[20:21]                                   // 0000000172B8: BEFE0114
	global_atomic_add_f32 v6, v187, s[8:9] offset:8            // 0000000172BC: DD348008 0008BB06
	global_atomic_add_f32 v6, v191, s[8:9] offset:264          // 0000000172C4: DD348108 0008BF06
	s_mov_b64 exec, s[36:37]                                   // 0000000172CC: BEFE0124
	v_mov_b32_e32 v6, v74                                      // 0000000172D0: 7E0C034A
	s_mov_b64 s[60:61], 0                                      // 0000000172D4: BEBC0180
	v_readlane_b32 s82, v3, 16                                 // 0000000172D8: D2890052 00012103
	s_and_b32 s82, s82, 0xffffff                               // 0000000172E0: 8652FF52 00FFFFFF
	s_cmp_lt_u32 s82, s66                                      // 0000000172E8: BF0A4252
	s_cselect_b32 s20, s36, s60                                // 0000000172EC: 85143C24
	v_readlane_b32 s82, v3, 17                                 // 0000000172F0: D2890052 00012303
	s_and_b32 s82, s82, 0xffffff                               // 0000000172F8: 8652FF52 00FFFFFF
	s_cmp_lt_u32 s82, s66                                      // 000000017300: BF0A4252
	s_cselect_b32 s21, s36, s60                                // 000000017304: 85153C24
	s_mov_b64 exec, s[20:21]                                   // 000000017308: BEFE0114
	global_atomic_add_f32 v6, v194, s[8:9] offset:8            // 00000001730C: DD348008 0008C206
	global_atomic_add_f32 v6, v198, s[8:9] offset:264          // 000000017314: DD348108 0008C606
	s_mov_b64 exec, s[36:37]                                   // 00000001731C: BEFE0124
	v_mov_b32_e32 v6, v75                                      // 000000017320: 7E0C034B
	s_mov_b64 s[60:61], 0                                      // 000000017324: BEBC0180
	v_readlane_b32 s82, v3, 18                                 // 000000017328: D2890052 00012503
	s_and_b32 s82, s82, 0xffffff                               // 000000017330: 8652FF52 00FFFFFF
	s_cmp_lt_u32 s82, s66                                      // 000000017338: BF0A4252
	s_cselect_b32 s20, s36, s60                                // 00000001733C: 85143C24
	v_readlane_b32 s82, v3, 19                                 // 000000017340: D2890052 00012703
	s_and_b32 s82, s82, 0xffffff                               // 000000017348: 8652FF52 00FFFFFF
	s_cmp_lt_u32 s82, s66                                      // 000000017350: BF0A4252
	s_cselect_b32 s21, s36, s60                                // 000000017354: 85153C24
	s_mov_b64 exec, s[20:21]                                   // 000000017358: BEFE0114
	global_atomic_add_f32 v6, v195, s[8:9] offset:8            // 00000001735C: DD348008 0008C306
	global_atomic_add_f32 v6, v199, s[8:9] offset:264          // 000000017364: DD348108 0008C706
	s_mov_b64 exec, s[36:37]                                   // 00000001736C: BEFE0124
	v_mov_b32_e32 v6, v76                                      // 000000017370: 7E0C034C
	s_mov_b64 s[60:61], 0                                      // 000000017374: BEBC0180
	v_readlane_b32 s82, v3, 20                                 // 000000017378: D2890052 00012903
	s_and_b32 s82, s82, 0xffffff                               // 000000017380: 8652FF52 00FFFFFF
	s_cmp_lt_u32 s82, s66                                      // 000000017388: BF0A4252
	s_cselect_b32 s20, s36, s60                                // 00000001738C: 85143C24
	v_readlane_b32 s82, v3, 21                                 // 000000017390: D2890052 00012B03
	s_and_b32 s82, s82, 0xffffff                               // 000000017398: 8652FF52 00FFFFFF
	s_cmp_lt_u32 s82, s66                                      // 0000000173A0: BF0A4252
	s_cselect_b32 s21, s36, s60                                // 0000000173A4: 85153C24
	s_mov_b64 exec, s[20:21]                                   // 0000000173A8: BEFE0114
	global_atomic_add_f32 v6, v202, s[8:9] offset:8            // 0000000173AC: DD348008 0008CA06
	global_atomic_add_f32 v6, v206, s[8:9] offset:264          // 0000000173B4: DD348108 0008CE06
	s_mov_b64 exec, s[36:37]                                   // 0000000173BC: BEFE0124
	v_mov_b32_e32 v6, v77                                      // 0000000173C0: 7E0C034D
	s_mov_b64 s[60:61], 0                                      // 0000000173C4: BEBC0180
	v_readlane_b32 s82, v3, 22                                 // 0000000173C8: D2890052 00012D03
	s_and_b32 s82, s82, 0xffffff                               // 0000000173D0: 8652FF52 00FFFFFF
	s_cmp_lt_u32 s82, s66                                      // 0000000173D8: BF0A4252
	s_cselect_b32 s20, s36, s60                                // 0000000173DC: 85143C24
	v_readlane_b32 s82, v3, 23                                 // 0000000173E0: D2890052 00012F03
	s_and_b32 s82, s82, 0xffffff                               // 0000000173E8: 8652FF52 00FFFFFF
	s_cmp_lt_u32 s82, s66                                      // 0000000173F0: BF0A4252
	s_cselect_b32 s21, s36, s60                                // 0000000173F4: 85153C24
	s_mov_b64 exec, s[20:21]                                   // 0000000173F8: BEFE0114
	global_atomic_add_f32 v6, v203, s[8:9] offset:8            // 0000000173FC: DD348008 0008CB06
	global_atomic_add_f32 v6, v207, s[8:9] offset:264          // 000000017404: DD348108 0008CF06
	s_mov_b64 exec, s[36:37]                                   // 00000001740C: BEFE0124
	v_mov_b32_e32 v6, v78                                      // 000000017410: 7E0C034E
	s_mov_b64 s[60:61], 0                                      // 000000017414: BEBC0180
	v_readlane_b32 s82, v3, 24                                 // 000000017418: D2890052 00013103
	s_and_b32 s82, s82, 0xffffff                               // 000000017420: 8652FF52 00FFFFFF
	s_cmp_lt_u32 s82, s66                                      // 000000017428: BF0A4252
	s_cselect_b32 s20, s36, s60                                // 00000001742C: 85143C24
	v_readlane_b32 s82, v3, 25                                 // 000000017430: D2890052 00013303
	s_and_b32 s82, s82, 0xffffff                               // 000000017438: 8652FF52 00FFFFFF
	s_cmp_lt_u32 s82, s66                                      // 000000017440: BF0A4252
	s_cselect_b32 s21, s36, s60                                // 000000017444: 85153C24
	s_mov_b64 exec, s[20:21]                                   // 000000017448: BEFE0114
	global_atomic_add_f32 v6, v210, s[8:9] offset:8            // 00000001744C: DD348008 0008D206
	global_atomic_add_f32 v6, v214, s[8:9] offset:264          // 000000017454: DD348108 0008D606
	s_mov_b64 exec, s[36:37]                                   // 00000001745C: BEFE0124
	v_mov_b32_e32 v6, v79                                      // 000000017460: 7E0C034F
	s_mov_b64 s[60:61], 0                                      // 000000017464: BEBC0180
	v_readlane_b32 s82, v3, 26                                 // 000000017468: D2890052 00013503
	s_and_b32 s82, s82, 0xffffff                               // 000000017470: 8652FF52 00FFFFFF
	s_cmp_lt_u32 s82, s66                                      // 000000017478: BF0A4252
	s_cselect_b32 s20, s36, s60                                // 00000001747C: 85143C24
	v_readlane_b32 s82, v3, 27                                 // 000000017480: D2890052 00013703
	s_and_b32 s82, s82, 0xffffff                               // 000000017488: 8652FF52 00FFFFFF
	s_cmp_lt_u32 s82, s66                                      // 000000017490: BF0A4252
	s_cselect_b32 s21, s36, s60                                // 000000017494: 85153C24
	s_mov_b64 exec, s[20:21]                                   // 000000017498: BEFE0114
	global_atomic_add_f32 v6, v211, s[8:9] offset:8            // 00000001749C: DD348008 0008D306
	global_atomic_add_f32 v6, v215, s[8:9] offset:264          // 0000000174A4: DD348108 0008D706
	s_mov_b64 exec, s[36:37]                                   // 0000000174AC: BEFE0124
	v_mov_b32_e32 v6, v80                                      // 0000000174B0: 7E0C0350
	s_mov_b64 s[60:61], 0                                      // 0000000174B4: BEBC0180
	v_readlane_b32 s82, v3, 28                                 // 0000000174B8: D2890052 00013903
	s_and_b32 s82, s82, 0xffffff                               // 0000000174C0: 8652FF52 00FFFFFF
	s_cmp_lt_u32 s82, s66                                      // 0000000174C8: BF0A4252
	s_cselect_b32 s20, s36, s60                                // 0000000174CC: 85143C24
	v_readlane_b32 s82, v3, 29                                 // 0000000174D0: D2890052 00013B03
	s_and_b32 s82, s82, 0xffffff                               // 0000000174D8: 8652FF52 00FFFFFF
	s_cmp_lt_u32 s82, s66                                      // 0000000174E0: BF0A4252
	s_cselect_b32 s21, s36, s60                                // 0000000174E4: 85153C24
	s_mov_b64 exec, s[20:21]                                   // 0000000174E8: BEFE0114
	global_atomic_add_f32 v6, v218, s[8:9] offset:8            // 0000000174EC: DD348008 0008DA06
	global_atomic_add_f32 v6, v222, s[8:9] offset:264          // 0000000174F4: DD348108 0008DE06
	s_mov_b64 exec, s[36:37]                                   // 0000000174FC: BEFE0124
	v_mov_b32_e32 v6, v81                                      // 000000017500: 7E0C0351
	s_mov_b64 s[60:61], 0                                      // 000000017504: BEBC0180
	v_readlane_b32 s82, v3, 30                                 // 000000017508: D2890052 00013D03
	s_and_b32 s82, s82, 0xffffff                               // 000000017510: 8652FF52 00FFFFFF
	s_cmp_lt_u32 s82, s66                                      // 000000017518: BF0A4252
	s_cselect_b32 s20, s36, s60                                // 00000001751C: 85143C24
	v_readlane_b32 s82, v3, 31                                 // 000000017520: D2890052 00013F03
	s_and_b32 s82, s82, 0xffffff                               // 000000017528: 8652FF52 00FFFFFF
	s_cmp_lt_u32 s82, s66                                      // 000000017530: BF0A4252
	s_cselect_b32 s21, s36, s60                                // 000000017534: 85153C24
	s_mov_b64 exec, s[20:21]                                   // 000000017538: BEFE0114
	global_atomic_add_f32 v6, v219, s[8:9] offset:8            // 00000001753C: DD348008 0008DB06
	global_atomic_add_f32 v6, v223, s[8:9] offset:264          // 000000017544: DD348108 0008DF06
	s_mov_b64 exec, s[36:37]                                   // 00000001754C: BEFE0124
	v_mov_b32_e32 v6, v82                                      // 000000017550: 7E0C0352
	s_mov_b64 s[60:61], 0                                      // 000000017554: BEBC0180
	v_readlane_b32 s82, v3, 32                                 // 000000017558: D2890052 00014103
	s_and_b32 s82, s82, 0xffffff                               // 000000017560: 8652FF52 00FFFFFF
	s_cmp_lt_u32 s82, s66                                      // 000000017568: BF0A4252
	s_cselect_b32 s20, s36, s60                                // 00000001756C: 85143C24
	v_readlane_b32 s82, v3, 33                                 // 000000017570: D2890052 00014303
	s_and_b32 s82, s82, 0xffffff                               // 000000017578: 8652FF52 00FFFFFF
	s_cmp_lt_u32 s82, s66                                      // 000000017580: BF0A4252
	s_cselect_b32 s21, s36, s60                                // 000000017584: 85153C24
	s_mov_b64 exec, s[20:21]                                   // 000000017588: BEFE0114
	global_atomic_add_f32 v6, v226, s[8:9] offset:8            // 00000001758C: DD348008 0008E206
	global_atomic_add_f32 v6, v230, s[8:9] offset:264          // 000000017594: DD348108 0008E606
	s_mov_b64 exec, s[36:37]                                   // 00000001759C: BEFE0124
	v_mov_b32_e32 v6, v83                                      // 0000000175A0: 7E0C0353
	s_mov_b64 s[60:61], 0                                      // 0000000175A4: BEBC0180
	v_readlane_b32 s82, v3, 34                                 // 0000000175A8: D2890052 00014503
	s_and_b32 s82, s82, 0xffffff                               // 0000000175B0: 8652FF52 00FFFFFF
	s_cmp_lt_u32 s82, s66                                      // 0000000175B8: BF0A4252
	s_cselect_b32 s20, s36, s60                                // 0000000175BC: 85143C24
	v_readlane_b32 s82, v3, 35                                 // 0000000175C0: D2890052 00014703
	s_and_b32 s82, s82, 0xffffff                               // 0000000175C8: 8652FF52 00FFFFFF
	s_cmp_lt_u32 s82, s66                                      // 0000000175D0: BF0A4252
	s_cselect_b32 s21, s36, s60                                // 0000000175D4: 85153C24
	s_mov_b64 exec, s[20:21]                                   // 0000000175D8: BEFE0114
	global_atomic_add_f32 v6, v227, s[8:9] offset:8            // 0000000175DC: DD348008 0008E306
	global_atomic_add_f32 v6, v231, s[8:9] offset:264          // 0000000175E4: DD348108 0008E706
	s_mov_b64 exec, s[36:37]                                   // 0000000175EC: BEFE0124
	s_branch label_5300                                        // 0000000175F0: BF820000

00000000000175f4 <label_5300>:
	s_waitcnt vmcnt(0) expcnt(0) lgkmcnt(0)                    // 0000000175F4: BF8C0000
	s_endpgm                                                   // 0000000175F8: BF810000
